;; amdgpu-corpus repo=tuanlda78202/gpt-oss-amd kind=compiled arch=gfx950 opt=O3
	.amdgcn_target "amdgcn-amd-amdhsa--gfx950"
	.amdhsa_code_object_version 6
	.text
	.protected	_Z27moe_mlp1_swiglu_mfma_kernelPKiiiPKfPfPK14__hip_bfloat16S6_iixxff ; -- Begin function _Z27moe_mlp1_swiglu_mfma_kernelPKiiiPKfPfPK14__hip_bfloat16S6_iixxff
	.globl	_Z27moe_mlp1_swiglu_mfma_kernelPKiiiPKfPfPK14__hip_bfloat16S6_iixxff
	.p2align	8
	.type	_Z27moe_mlp1_swiglu_mfma_kernelPKiiiPKfPfPK14__hip_bfloat16S6_iixxff,@function
_Z27moe_mlp1_swiglu_mfma_kernelPKiiiPKfPfPK14__hip_bfloat16S6_iixxff: ; @_Z27moe_mlp1_swiglu_mfma_kernelPKiiiPKfPfPK14__hip_bfloat16S6_iixxff
; %bb.0:
	s_load_dwordx2 s[6:7], s[0:1], 0x8
	s_waitcnt lgkmcnt(0)
	s_cmp_ge_i32 s4, s7
	s_cbranch_scc1 .LBB0_103
; %bb.1:
	s_load_dwordx2 s[8:9], s[0:1], 0x0
	s_load_dwordx2 s[18:19], s[0:1], 0x30
	s_add_i32 s4, s6, s4
	s_mul_i32 s4, s4, 3
	s_ashr_i32 s5, s4, 31
	s_lshl_b64 s[4:5], s[4:5], 2
	s_waitcnt lgkmcnt(0)
	s_add_u32 s6, s8, s4
	s_addc_u32 s7, s9, s5
	s_load_dwordx2 s[28:29], s[6:7], 0x4
	s_cmp_eq_u32 s19, 0
	s_cselect_b64 s[4:5], -1, 0
	s_waitcnt lgkmcnt(0)
	s_cmp_eq_u32 s29, 0
	s_cselect_b64 s[8:9], -1, 0
	s_or_b64 s[4:5], s[4:5], s[8:9]
	s_cmp_eq_u32 s18, 0
	s_cselect_b64 s[8:9], -1, 0
	s_or_b64 s[4:5], s[8:9], s[4:5]
	s_and_b64 vcc, exec, s[4:5]
	s_cbranch_vccnz .LBB0_103
; %bb.2:
	s_load_dword s38, s[6:7], 0x0
	s_load_dwordx2 s[4:5], s[0:1], 0x28
	s_load_dwordx4 s[20:23], s[0:1], 0x38
	s_mov_b64 s[10:11], 0
	s_waitcnt lgkmcnt(0)
	s_ashr_i32 s39, s38, 31
	s_cmp_eq_u64 s[4:5], 0
	s_cbranch_scc1 .LBB0_4
; %bb.3:
	s_mul_i32 s6, s22, s39
	s_mul_hi_u32 s7, s22, s38
	s_add_i32 s6, s7, s6
	s_mul_i32 s7, s23, s38
	s_add_i32 s7, s6, s7
	s_mul_i32 s6, s22, s38
	s_lshl_b64 s[6:7], s[6:7], 1
	s_add_u32 s10, s4, s6
	s_addc_u32 s11, s5, s7
.LBB0_4:
	s_lshl_b32 s30, s19, 1
	s_lshl_b32 s40, s3, 8
	s_cmp_lt_i32 s40, s30
	s_cselect_b64 s[4:5], -1, 0
	s_lshl_b32 s41, s2, 6
	s_cmp_lt_i32 s41, s29
	s_cselect_b64 s[6:7], -1, 0
	s_and_b64 s[4:5], s[4:5], s[6:7]
	s_andn2_b64 vcc, exec, s[4:5]
	s_cbranch_vccnz .LBB0_103
; %bb.5:
	v_lshrrev_b32_e32 v2, 2, v0
	v_and_b32_e32 v1, 0xf0, v2
	v_or_b32_e32 v8, s40, v1
	v_and_b32_e32 v52, 12, v2
	v_or_b32_e32 v6, v8, v52
	s_cmp_lg_u64 s[10:11], 0
	s_cselect_b64 s[14:15], -1, 0
	v_cmp_gt_i32_e32 vcc, s30, v6
	v_mov_b32_e32 v2, 0
	s_and_b64 s[6:7], s[14:15], vcc
	v_mov_b32_e32 v3, v2
	v_mov_b32_e32 v4, v2
	v_mov_b32_e32 v5, v2
	s_and_saveexec_b64 s[4:5], s[6:7]
	s_cbranch_execz .LBB0_7
; %bb.6:
	v_ashrrev_i32_e32 v7, 31, v6
	v_lshl_add_u64 v[4:5], v[6:7], 1, s[10:11]
	global_load_ushort v3, v[4:5], off
	v_mov_b32_e32 v11, v2
	v_mov_b32_e32 v12, v2
	;; [unrolled: 1-line block ×3, first 2 shown]
	s_waitcnt vmcnt(0)
	v_lshlrev_b32_e32 v10, 16, v3
	v_mov_b64_e32 v[2:3], v[10:11]
	v_mov_b64_e32 v[4:5], v[12:13]
.LBB0_7:
	s_or_b64 exec, exec, s[4:5]
	v_or_b32_e32 v7, 1, v6
	v_cmp_gt_i32_e64 s[6:7], s30, v7
	s_and_b64 s[8:9], s[14:15], s[6:7]
	s_and_saveexec_b64 s[4:5], s[8:9]
	s_cbranch_execz .LBB0_9
; %bb.8:
	v_ashrrev_i32_e32 v7, 31, v6
	v_lshl_add_u64 v[10:11], v[6:7], 1, s[10:11]
	global_load_ushort v3, v[10:11], off offset:2
	s_waitcnt vmcnt(0)
	v_lshlrev_b32_e32 v3, 16, v3
.LBB0_9:
	s_or_b64 exec, exec, s[4:5]
	v_or_b32_e32 v9, 2, v6
	v_cmp_gt_i32_e64 s[8:9], s30, v9
	s_and_b64 s[12:13], s[14:15], s[8:9]
	s_and_saveexec_b64 s[4:5], s[12:13]
	s_cbranch_execz .LBB0_11
; %bb.10:
	v_ashrrev_i32_e32 v7, 31, v6
	v_lshl_add_u64 v[10:11], v[6:7], 1, s[10:11]
	global_load_ushort v4, v[10:11], off offset:4
	s_waitcnt vmcnt(0)
	v_lshlrev_b32_e32 v4, 16, v4
.LBB0_11:
	s_or_b64 exec, exec, s[4:5]
	v_or_b32_e32 v10, 3, v6
	v_cmp_gt_i32_e64 s[4:5], s30, v10
	v_cmp_le_i32_e64 s[12:13], s30, v10
	s_and_b64 s[14:15], s[14:15], s[4:5]
	s_and_saveexec_b64 s[4:5], s[14:15]
	s_cbranch_execz .LBB0_13
; %bb.12:
	v_ashrrev_i32_e32 v7, 31, v6
	v_lshl_add_u64 v[12:13], v[6:7], 1, s[10:11]
	global_load_ushort v5, v[12:13], off offset:6
	s_waitcnt vmcnt(0)
	v_lshlrev_b32_e32 v5, 16, v5
.LBB0_13:
	s_or_b64 exec, exec, s[4:5]
	s_add_i32 s3, s29, 63
	s_ashr_i32 s4, s3, 31
	s_lshr_b32 s4, s4, 26
	s_add_i32 s3, s3, s4
	s_ashr_i32 s3, s3, 6
	s_cmp_lt_i32 s2, s3
	s_cbranch_scc0 .LBB0_103
; %bb.14:
	s_add_i32 s4, s18, 63
	s_ashr_i32 s5, s4, 31
	s_load_dwordx4 s[24:27], s[0:1], 0x10
	s_load_dwordx2 s[10:11], s[0:1], 0x20
	s_lshr_b32 s5, s5, 26
	s_add_i32 s4, s4, s5
	s_ashr_i32 s33, s4, 6
	s_mul_hi_i32 s5, s28, s18
	s_mul_i32 s4, s28, s18
	s_ashr_i32 s15, s28, 31
	s_ashr_i32 s44, s18, 31
	s_lshl_b64 s[4:5], s[4:5], 2
	s_waitcnt lgkmcnt(0)
	s_add_u32 s4, s24, s4
	s_mul_hi_i32 s17, s28, s19
	s_mul_i32 s16, s28, s19
	s_addc_u32 s5, s25, s5
	s_lshl_b64 s[16:17], s[16:17], 2
	s_add_u32 s22, s26, s16
	v_lshlrev_b32_e32 v7, 2, v0
	s_addc_u32 s23, s27, s17
	v_and_b32_e32 v11, 60, v7
	v_and_b32_e32 v53, 15, v0
	s_mov_b32 s14, s28
	v_lshrrev_b32_e32 v54, 4, v0
	v_lshlrev_b32_e32 v12, 2, v11
	v_mov_b32_e32 v13, 0
	v_lshlrev_b32_e32 v7, 1, v11
	s_movk_i32 s36, 0x88
	s_cmp_gt_i32 s18, 0
	s_load_dwordx2 s[26:27], s[0:1], 0x48
	s_load_dword s28, s[0:1], 0x50
	v_cmp_gt_i32_e64 s[0:1], s30, v10
	v_ashrrev_i32_e32 v36, 1, v9
	v_lshl_add_u64 v[30:31], s[4:5], 0, v[12:13]
	v_mad_u32_u24 v55, v54, s36, v7
	s_cselect_b64 s[42:43], -1, 0
	v_or_b32_e32 v7, v8, v53
	v_ashrrev_i32_e32 v32, 1, v6
	s_and_b64 s[8:9], s[8:9], s[0:1]
	v_cmp_gt_i32_e64 s[0:1], s19, v36
	v_lshlrev_b32_e32 v6, 1, v52
	v_lshlrev_b32_e32 v12, 4, v53
	v_cmp_gt_i32_e64 s[4:5], s30, v7
	s_and_b64 s[6:7], vcc, s[6:7]
	v_cmp_gt_i32_e32 vcc, s19, v32
	s_and_b64 s[34:35], s[8:9], s[0:1]
	v_mad_u32_u24 v56, v53, s36, v6
	v_lshl_add_u64 v[6:7], s[24:25], 0, v[12:13]
	s_mov_b64 s[24:25], 0x100
	s_mul_i32 s0, s20, s39
	s_mul_hi_u32 s1, s20, s38
	v_add3_u32 v1, s40, v1, v53
	s_and_b64 s[30:31], s[6:7], vcc
	v_lshl_add_u64 v[38:39], v[6:7], 0, s[24:25]
	s_add_i32 s0, s1, s0
	s_mul_i32 s1, s21, s38
	v_mad_i64_i32 v[6:7], s[6:7], s18, v1, 0
	s_add_i32 s1, s0, s1
	s_mul_i32 s0, s20, s38
	v_lshlrev_b64 v[6:7], 1, v[6:7]
	v_lshrrev_b32_e32 v0, 1, v0
	v_lshl_add_u64 v[6:7], s[0:1], 1, v[6:7]
	v_and_b32_e32 v12, 24, v0
	v_lshl_add_u64 v[0:1], v[6:7], 0, v[12:13]
	v_ashrrev_i32_e32 v33, 31, v32
	s_max_i32 s37, s33, 1
	v_lshl_add_u64 v[0:1], s[10:11], 0, v[0:1]
	s_mov_b64 s[0:1], 0x64
	v_cndmask_b32_e64 v6, 0, 1, s[42:43]
	s_mov_b32 s45, s18
	s_mov_b32 s46, s19
	v_cmp_gt_i32_e64 s[16:17], s18, v11
	v_lshl_add_u64 v[34:35], v[32:33], 2, s[22:23]
	v_ashrrev_i32_e32 v37, 31, v36
	s_lshl_b32 s19, s37, 6
	s_lshl_b64 s[36:37], s[14:15], 2
	v_add_u32_e32 v40, s41, v54
	s_waitcnt lgkmcnt(0)
	s_lshl_b32 s47, s28, 6
	v_lshl_add_u64 v[0:1], v[0:1], 0, s[0:1]
	v_or_b32_e32 v57, 64, v11
	s_mov_b32 s48, 0x5040100
	v_cmp_ne_u32_e64 s[6:7], 1, v6
	s_mov_b32 s49, 0xffff
	s_mov_b64 s[20:21], 0x80
	s_branch .LBB0_17
.LBB0_15:                               ;   in Loop: Header=BB0_17 Depth=1
	s_or_b64 exec, exec, s[8:9]
.LBB0_16:                               ;   in Loop: Header=BB0_17 Depth=1
	s_or_b64 exec, exec, s[0:1]
	s_add_i32 s2, s28, s2
	s_cmp_lt_i32 s2, s3
	v_add_u32_e32 v40, s47, v40
	s_barrier
	s_cbranch_scc0 .LBB0_103
.LBB0_17:                               ; =>This Loop Header: Depth=1
                                        ;     Child Loop BB0_23 Depth 2
	s_lshl_b32 s38, s2, 6
	v_or_b32_e32 v8, s38, v54
	v_cmp_gt_i32_e64 s[8:9], s29, v8
	s_and_b64 s[10:11], s[8:9], s[16:17]
	v_mov_b32_e32 v6, 0
	v_mov_b32_e32 v7, 0
	s_and_saveexec_b64 s[0:1], s[10:11]
	s_cbranch_execz .LBB0_19
; %bb.18:                               ;   in Loop: Header=BB0_17 Depth=1
	v_mad_i64_i32 v[6:7], s[10:11], v8, s45, 0
	v_lshl_add_u64 v[6:7], v[6:7], 2, v[30:31]
	global_load_dwordx4 v[6:9], v[6:7], off
	s_waitcnt vmcnt(0)
	v_cvt_pk_bf16_f32 v6, v6, s0
	v_cvt_pk_bf16_f32 v7, v7, v8
	;; [unrolled: 1-line block ×3, first 2 shown]
	v_perm_b32 v6, v7, v6, s48
	v_alignbit_b32 v7, v8, v7, 16
.LBB0_19:                               ;   in Loop: Header=BB0_17 Depth=1
	s_or_b64 exec, exec, s[0:1]
	ds_write_b64 v55, v[6:7]
	v_mov_b64_e32 v[20:21], v[4:5]
	v_mov_b64_e32 v[16:17], v[4:5]
	;; [unrolled: 1-line block ×4, first 2 shown]
	s_and_b64 vcc, exec, s[6:7]
	v_mov_b64_e32 v[18:19], v[2:3]
	v_mov_b64_e32 v[14:15], v[2:3]
	;; [unrolled: 1-line block ×4, first 2 shown]
	s_waitcnt lgkmcnt(0)
	s_barrier
	s_cbranch_vccnz .LBB0_74
; %bb.20:                               ;   in Loop: Header=BB0_17 Depth=1
	v_ashrrev_i32_e32 v41, 31, v40
	v_lshl_add_u64 v[6:7], v[40:41], 2, s[36:37]
	v_mul_lo_u32 v7, s45, v7
	v_mul_lo_u32 v8, s44, v6
	v_mad_u64_u32 v[42:43], s[0:1], s45, v6, v[38:39]
	v_add3_u32 v43, v8, v43, v7
	v_mov_b64_e32 v[20:21], v[4:5]
	v_mov_b64_e32 v[16:17], v[4:5]
	;; [unrolled: 1-line block ×4, first 2 shown]
	s_mov_b32 s39, 0
	s_mov_b32 s40, 1
	v_mov_b64_e32 v[44:45], v[0:1]
	v_mov_b64_e32 v[18:19], v[2:3]
	;; [unrolled: 1-line block ×5, first 2 shown]
	s_branch .LBB0_23
.LBB0_21:                               ;   in Loop: Header=BB0_23 Depth=2
	s_or_b64 exec, exec, s[10:11]
.LBB0_22:                               ;   in Loop: Header=BB0_23 Depth=2
	s_or_b64 exec, exec, s[0:1]
	ds_read2_b64 v[22:25], v58 offset0:8 offset1:12
	v_add_u32_e32 v26, 0x800, v58
	ds_read2_b64 v[26:29], v26 offset0:24 offset1:28
	s_add_i32 s39, s39, 64
	s_add_i32 s40, s40, 1
	s_waitcnt vmcnt(0) lgkmcnt(1)
	v_mfma_f32_16x16x16_bf16 v[18:21], v[50:51], v[22:23], v[18:21]
	v_add_u32_e32 v22, 0x1000, v58
	ds_read2_b64 v[60:63], v22 offset0:40 offset1:44
	v_add_u32_e32 v22, 0x1800, v58
	s_waitcnt lgkmcnt(1)
	v_mfma_f32_16x16x16_bf16 v[10:13], v[50:51], v[26:27], v[10:13]
	v_lshl_add_u64 v[42:43], v[42:43], 0, s[24:25]
	v_lshl_add_u64 v[44:45], v[44:45], 0, s[20:21]
	s_cmp_eq_u32 s19, s39
	s_waitcnt lgkmcnt(0)
	v_mfma_f32_16x16x16_bf16 v[6:9], v[50:51], v[60:61], v[6:9]
	ds_read2_b64 v[58:61], v22 offset0:56 offset1:60
	s_waitcnt lgkmcnt(0)
	s_barrier
	v_mfma_f32_16x16x16_bf16 v[64:67], v[50:51], v[58:59], v[14:17]
	v_mfma_f32_16x16x16_bf16 v[18:21], v[48:49], v[24:25], v[18:21]
	;; [unrolled: 1-line block ×5, first 2 shown]
	s_cbranch_scc1 .LBB0_74
.LBB0_23:                               ;   Parent Loop BB0_17 Depth=1
                                        ; =>  This Inner Loop Header: Depth=2
	s_add_i32 s0, s40, -1
	s_and_b32 s41, s0, 1
	s_cmp_ge_i32 s40, s33
	s_cbranch_scc1 .LBB0_27
; %bb.24:                               ;   in Loop: Header=BB0_23 Depth=2
	v_add_u32_e32 v22, s39, v57
	v_cmp_gt_i32_e32 vcc, s18, v22
	s_and_b64 s[10:11], s[8:9], vcc
	v_mov_b32_e32 v22, 0
	v_mov_b32_e32 v23, 0
	s_and_saveexec_b64 s[0:1], s[10:11]
	s_cbranch_execz .LBB0_26
; %bb.25:                               ;   in Loop: Header=BB0_23 Depth=2
	global_load_dwordx4 v[22:25], v[42:43], off
	s_waitcnt vmcnt(0)
	v_cvt_pk_bf16_f32 v22, v22, s0
	v_cvt_pk_bf16_f32 v23, v23, v24
	;; [unrolled: 1-line block ×3, first 2 shown]
	v_perm_b32 v22, v23, v22, s48
	v_alignbit_b32 v23, v24, v23, 16
.LBB0_26:                               ;   in Loop: Header=BB0_23 Depth=2
	s_or_b64 exec, exec, s[0:1]
	s_xor_b32 s0, s41, 1
	s_mulk_i32 s0, 0x2200
	v_add_u32_e32 v24, s0, v55
	ds_write_b64 v24, v[22:23]
.LBB0_27:                               ;   in Loop: Header=BB0_23 Depth=2
	v_add_u32_e32 v41, s39, v52
	v_mov_b32_e32 v46, 0
	v_mov_b32_e32 v26, 0
	;; [unrolled: 1-line block ×3, first 2 shown]
	s_and_saveexec_b64 s[0:1], s[4:5]
	s_cbranch_execz .LBB0_39
; %bb.28:                               ;   in Loop: Header=BB0_23 Depth=2
	v_add_u32_e32 v22, 3, v41
	v_cmp_le_i32_e32 vcc, s18, v22
                                        ; implicit-def: $vgpr27
	s_and_saveexec_b64 s[10:11], vcc
	s_xor_b64 s[10:11], exec, s[10:11]
	s_cbranch_execz .LBB0_36
; %bb.29:                               ;   in Loop: Header=BB0_23 Depth=2
	v_cmp_gt_i32_e32 vcc, s18, v41
	v_mov_b32_e32 v27, 0
	v_mov_b32_e32 v26, 0
	s_and_saveexec_b64 s[14:15], vcc
	s_cbranch_execz .LBB0_31
; %bb.30:                               ;   in Loop: Header=BB0_23 Depth=2
	global_load_ushort v22, v[44:45], off offset:-100
	s_waitcnt vmcnt(0)
	v_and_b32_e32 v26, 0xffff, v22
.LBB0_31:                               ;   in Loop: Header=BB0_23 Depth=2
	s_or_b64 exec, exec, s[14:15]
	v_add_u32_e32 v22, 1, v41
	v_cmp_gt_i32_e32 vcc, s18, v22
	s_and_saveexec_b64 s[14:15], vcc
	s_cbranch_execz .LBB0_33
; %bb.32:                               ;   in Loop: Header=BB0_23 Depth=2
	global_load_ushort v22, v[44:45], off offset:-98
	s_waitcnt vmcnt(0)
	v_perm_b32 v26, v22, v26, s48
.LBB0_33:                               ;   in Loop: Header=BB0_23 Depth=2
	s_or_b64 exec, exec, s[14:15]
	v_add_u32_e32 v22, 2, v41
	v_cmp_gt_i32_e32 vcc, s18, v22
	s_and_saveexec_b64 s[14:15], vcc
	s_cbranch_execz .LBB0_35
; %bb.34:                               ;   in Loop: Header=BB0_23 Depth=2
	global_load_ushort v22, v[44:45], off offset:-96
	s_waitcnt vmcnt(0)
	v_bfi_b32 v27, s49, v22, v27
.LBB0_35:                               ;   in Loop: Header=BB0_23 Depth=2
	s_or_b64 exec, exec, s[14:15]
.LBB0_36:                               ;   in Loop: Header=BB0_23 Depth=2
	s_andn2_saveexec_b64 s[10:11], s[10:11]
	s_cbranch_execz .LBB0_38
; %bb.37:                               ;   in Loop: Header=BB0_23 Depth=2
	global_load_dwordx2 v[26:27], v[44:45], off offset:-100
.LBB0_38:                               ;   in Loop: Header=BB0_23 Depth=2
	s_or_b64 exec, exec, s[10:11]
.LBB0_39:                               ;   in Loop: Header=BB0_23 Depth=2
	s_or_b64 exec, exec, s[0:1]
	v_mov_b32_e32 v47, 0
	s_and_saveexec_b64 s[0:1], s[4:5]
	s_cbranch_execz .LBB0_51
; %bb.40:                               ;   in Loop: Header=BB0_23 Depth=2
	v_add_u32_e32 v22, 19, v41
	v_cmp_le_i32_e32 vcc, s18, v22
                                        ; implicit-def: $vgpr47
	s_and_saveexec_b64 s[10:11], vcc
	s_xor_b64 s[10:11], exec, s[10:11]
	s_cbranch_execz .LBB0_48
; %bb.41:                               ;   in Loop: Header=BB0_23 Depth=2
	v_add_u32_e32 v22, 16, v41
	v_cmp_gt_i32_e32 vcc, s18, v22
	v_mov_b32_e32 v47, 0
	v_mov_b32_e32 v46, 0
	s_and_saveexec_b64 s[14:15], vcc
	s_cbranch_execz .LBB0_43
; %bb.42:                               ;   in Loop: Header=BB0_23 Depth=2
	global_load_ushort v22, v[44:45], off offset:-68
	s_waitcnt vmcnt(0)
	v_and_b32_e32 v46, 0xffff, v22
.LBB0_43:                               ;   in Loop: Header=BB0_23 Depth=2
	s_or_b64 exec, exec, s[14:15]
	v_add_u32_e32 v22, 17, v41
	v_cmp_gt_i32_e32 vcc, s18, v22
	s_and_saveexec_b64 s[14:15], vcc
	s_cbranch_execz .LBB0_45
; %bb.44:                               ;   in Loop: Header=BB0_23 Depth=2
	global_load_ushort v22, v[44:45], off offset:-66
	s_waitcnt vmcnt(0)
	v_perm_b32 v46, v22, v46, s48
.LBB0_45:                               ;   in Loop: Header=BB0_23 Depth=2
	s_or_b64 exec, exec, s[14:15]
	v_add_u32_e32 v22, 18, v41
	v_cmp_gt_i32_e32 vcc, s18, v22
	s_and_saveexec_b64 s[14:15], vcc
	s_cbranch_execz .LBB0_47
; %bb.46:                               ;   in Loop: Header=BB0_23 Depth=2
	global_load_ushort v22, v[44:45], off offset:-64
	s_waitcnt vmcnt(0)
	v_bfi_b32 v47, s49, v22, v47
.LBB0_47:                               ;   in Loop: Header=BB0_23 Depth=2
	s_or_b64 exec, exec, s[14:15]
.LBB0_48:                               ;   in Loop: Header=BB0_23 Depth=2
	s_andn2_saveexec_b64 s[10:11], s[10:11]
	s_cbranch_execz .LBB0_50
; %bb.49:                               ;   in Loop: Header=BB0_23 Depth=2
	global_load_dwordx2 v[46:47], v[44:45], off offset:-68
.LBB0_50:                               ;   in Loop: Header=BB0_23 Depth=2
	s_or_b64 exec, exec, s[10:11]
.LBB0_51:                               ;   in Loop: Header=BB0_23 Depth=2
	s_or_b64 exec, exec, s[0:1]
	s_mulk_i32 s41, 0x2200
	v_add_u32_e32 v58, s41, v56
	ds_read_b64 v[22:23], v58
	ds_read_b64 v[24:25], v58 offset:2176
	ds_read_b64 v[28:29], v58 offset:4352
	;; [unrolled: 1-line block ×3, first 2 shown]
	v_mov_b32_e32 v48, 0
	s_waitcnt vmcnt(0) lgkmcnt(3)
	v_mfma_f32_16x16x16_bf16 v[18:21], v[26:27], v[22:23], v[18:21]
	v_mov_b32_e32 v50, 0
	v_mov_b32_e32 v51, 0
	s_waitcnt lgkmcnt(2)
	v_mfma_f32_16x16x16_bf16 v[14:17], v[26:27], v[24:25], v[14:17]
	s_waitcnt lgkmcnt(1)
	v_mfma_f32_16x16x16_bf16 v[22:25], v[26:27], v[28:29], v[10:13]
	;; [unrolled: 2-line block ×3, first 2 shown]
	s_and_saveexec_b64 s[0:1], s[4:5]
	s_cbranch_execz .LBB0_63
; %bb.52:                               ;   in Loop: Header=BB0_23 Depth=2
	s_nop 0
	v_add_u32_e32 v6, 35, v41
	v_cmp_le_i32_e32 vcc, s18, v6
                                        ; implicit-def: $vgpr51
	s_and_saveexec_b64 s[10:11], vcc
	s_xor_b64 s[10:11], exec, s[10:11]
	s_cbranch_execz .LBB0_60
; %bb.53:                               ;   in Loop: Header=BB0_23 Depth=2
	v_add_u32_e32 v6, 32, v41
	v_cmp_gt_i32_e32 vcc, s18, v6
	v_mov_b32_e32 v51, 0
	v_mov_b32_e32 v50, 0
	s_and_saveexec_b64 s[14:15], vcc
	s_cbranch_execz .LBB0_55
; %bb.54:                               ;   in Loop: Header=BB0_23 Depth=2
	global_load_ushort v6, v[44:45], off offset:-36
	s_waitcnt vmcnt(0)
	v_and_b32_e32 v50, 0xffff, v6
.LBB0_55:                               ;   in Loop: Header=BB0_23 Depth=2
	s_or_b64 exec, exec, s[14:15]
	v_add_u32_e32 v6, 33, v41
	v_cmp_gt_i32_e32 vcc, s18, v6
	s_and_saveexec_b64 s[14:15], vcc
	s_cbranch_execz .LBB0_57
; %bb.56:                               ;   in Loop: Header=BB0_23 Depth=2
	global_load_ushort v6, v[44:45], off offset:-34
	s_waitcnt vmcnt(0)
	v_perm_b32 v50, v6, v50, s48
.LBB0_57:                               ;   in Loop: Header=BB0_23 Depth=2
	s_or_b64 exec, exec, s[14:15]
	v_add_u32_e32 v6, 34, v41
	v_cmp_gt_i32_e32 vcc, s18, v6
	s_and_saveexec_b64 s[14:15], vcc
	s_cbranch_execz .LBB0_59
; %bb.58:                               ;   in Loop: Header=BB0_23 Depth=2
	global_load_ushort v6, v[44:45], off offset:-32
	s_waitcnt vmcnt(0)
	v_bfi_b32 v51, s49, v6, v51
.LBB0_59:                               ;   in Loop: Header=BB0_23 Depth=2
	s_or_b64 exec, exec, s[14:15]
.LBB0_60:                               ;   in Loop: Header=BB0_23 Depth=2
	s_andn2_saveexec_b64 s[10:11], s[10:11]
	s_cbranch_execz .LBB0_62
; %bb.61:                               ;   in Loop: Header=BB0_23 Depth=2
	global_load_dwordx2 v[50:51], v[44:45], off offset:-36
.LBB0_62:                               ;   in Loop: Header=BB0_23 Depth=2
	s_or_b64 exec, exec, s[10:11]
.LBB0_63:                               ;   in Loop: Header=BB0_23 Depth=2
	s_or_b64 exec, exec, s[0:1]
	ds_read_b64 v[6:7], v58 offset:32
	ds_read_b64 v[8:9], v58 offset:2208
	;; [unrolled: 1-line block ×4, first 2 shown]
	v_mov_b32_e32 v49, 0
	s_waitcnt lgkmcnt(3)
	v_mfma_f32_16x16x16_bf16 v[18:21], v[46:47], v[6:7], v[18:21]
	s_waitcnt lgkmcnt(2)
	v_mfma_f32_16x16x16_bf16 v[10:13], v[46:47], v[8:9], v[14:17]
	;; [unrolled: 2-line block ×4, first 2 shown]
	s_and_saveexec_b64 s[0:1], s[4:5]
	s_cbranch_execz .LBB0_22
; %bb.64:                               ;   in Loop: Header=BB0_23 Depth=2
	v_add_u32_e32 v22, 51, v41
	v_cmp_le_i32_e32 vcc, s18, v22
                                        ; implicit-def: $vgpr49
	s_and_saveexec_b64 s[10:11], vcc
	s_xor_b64 s[10:11], exec, s[10:11]
	s_cbranch_execz .LBB0_72
; %bb.65:                               ;   in Loop: Header=BB0_23 Depth=2
	v_add_u32_e32 v22, 48, v41
	v_cmp_gt_i32_e32 vcc, s18, v22
	v_mov_b32_e32 v49, 0
	v_mov_b32_e32 v48, 0
	s_and_saveexec_b64 s[14:15], vcc
	s_cbranch_execz .LBB0_67
; %bb.66:                               ;   in Loop: Header=BB0_23 Depth=2
	global_load_ushort v22, v[44:45], off offset:-4
	s_waitcnt vmcnt(0)
	v_and_b32_e32 v48, 0xffff, v22
.LBB0_67:                               ;   in Loop: Header=BB0_23 Depth=2
	s_or_b64 exec, exec, s[14:15]
	v_add_u32_e32 v22, 49, v41
	v_cmp_gt_i32_e32 vcc, s18, v22
	s_and_saveexec_b64 s[14:15], vcc
	s_cbranch_execz .LBB0_69
; %bb.68:                               ;   in Loop: Header=BB0_23 Depth=2
	global_load_ushort v22, v[44:45], off offset:-2
	s_waitcnt vmcnt(0)
	v_perm_b32 v48, v22, v48, s48
.LBB0_69:                               ;   in Loop: Header=BB0_23 Depth=2
	s_or_b64 exec, exec, s[14:15]
	v_add_u32_e32 v22, 50, v41
	v_cmp_gt_i32_e32 vcc, s18, v22
	s_and_saveexec_b64 s[14:15], vcc
	s_cbranch_execz .LBB0_71
; %bb.70:                               ;   in Loop: Header=BB0_23 Depth=2
	global_load_ushort v22, v[44:45], off
	s_waitcnt vmcnt(0)
	v_bfi_b32 v49, s49, v22, v49
.LBB0_71:                               ;   in Loop: Header=BB0_23 Depth=2
	s_or_b64 exec, exec, s[14:15]
.LBB0_72:                               ;   in Loop: Header=BB0_23 Depth=2
	s_andn2_saveexec_b64 s[10:11], s[10:11]
	s_cbranch_execz .LBB0_21
; %bb.73:                               ;   in Loop: Header=BB0_23 Depth=2
	global_load_dwordx2 v[48:49], v[44:45], off offset:-4
	s_branch .LBB0_21
.LBB0_74:                               ;   in Loop: Header=BB0_17 Depth=1
	v_or_b32_e32 v25, s38, v53
	v_or_b32_e32 v24, 16, v25
	v_or_b32_e32 v23, 32, v25
	v_or_b32_e32 v22, 48, v25
	s_and_saveexec_b64 s[0:1], s[12:13]
	s_xor_b64 s[38:39], exec, s[0:1]
	s_cbranch_execz .LBB0_88
; %bb.75:                               ;   in Loop: Header=BB0_17 Depth=1
	v_mad_i64_i32 v[26:27], s[0:1], v25, s46, 0
	v_cmp_gt_i32_e64 s[14:15], s29, v25
	v_cmp_gt_i32_e64 s[0:1], s29, v24
	v_mad_i64_i32 v[24:25], s[8:9], v24, s46, 0
	v_lshl_add_u64 v[28:29], v[26:27], 2, s[22:23]
	v_lshl_add_u64 v[26:27], v[24:25], 2, s[22:23]
	v_mad_i64_i32 v[24:25], s[8:9], v23, s46, 0
	v_cmp_gt_i32_e64 s[10:11], s29, v23
	v_cmp_gt_i32_e64 s[8:9], s29, v22
	v_mad_i64_i32 v[22:23], s[40:41], v22, s46, 0
	v_lshl_add_u64 v[24:25], v[24:25], 2, s[22:23]
	v_lshl_add_u64 v[22:23], v[22:23], 2, s[22:23]
	s_and_saveexec_b64 s[40:41], s[30:31]
	s_cbranch_execz .LBB0_81
; %bb.76:                               ;   in Loop: Header=BB0_17 Depth=1
	s_and_saveexec_b64 s[42:43], s[14:15]
	s_cbranch_execnz .LBB0_97
; %bb.77:                               ;   in Loop: Header=BB0_17 Depth=1
	s_or_b64 exec, exec, s[42:43]
	s_and_saveexec_b64 s[42:43], s[0:1]
	s_cbranch_execnz .LBB0_98
.LBB0_78:                               ;   in Loop: Header=BB0_17 Depth=1
	s_or_b64 exec, exec, s[42:43]
	s_and_saveexec_b64 s[42:43], s[10:11]
	s_cbranch_execnz .LBB0_99
.LBB0_79:                               ;   in Loop: Header=BB0_17 Depth=1
	s_or_b64 exec, exec, s[42:43]
	s_and_b64 exec, exec, s[8:9]
	s_cbranch_execz .LBB0_81
.LBB0_80:                               ;   in Loop: Header=BB0_17 Depth=1
	v_max_f32_e32 v6, v6, v6
	v_max_f32_e64 v14, s27, s27
	v_min_f32_e32 v6, v6, v14
	v_mul_f32_e32 v10, s26, v6
	v_mul_f32_e32 v10, 0xbfb8aa3b, v10
	v_exp_f32_e32 v15, v10
	v_max_f32_e64 v18, -s27, -s27
	v_max_f32_e32 v7, v7, v7
	v_max_f32_e32 v7, v7, v18
	v_add_f32_e32 v15, 1.0, v15
	v_div_scale_f32 v19, s[42:43], v15, v15, 1.0
	v_rcp_f32_e32 v41, v19
	v_min_f32_e32 v7, v7, v14
	v_add_f32_e32 v7, 1.0, v7
	v_lshl_add_u64 v[10:11], v[32:33], 2, v[22:23]
	v_fma_f32 v14, -v19, v41, 1.0
	v_fmac_f32_e32 v41, v14, v41
	v_div_scale_f32 v14, vcc, 1.0, v15, 1.0
	v_mul_f32_e32 v18, v14, v41
	v_fma_f32 v42, -v19, v18, v14
	v_fmac_f32_e32 v18, v42, v41
	v_fma_f32 v14, -v19, v18, v14
	v_div_fmas_f32 v14, v14, v41, v18
	v_div_fixup_f32 v14, v14, v15, 1.0
	v_mul_f32_e32 v6, v6, v14
	v_mul_f32_e32 v6, v7, v6
	global_store_dword v[10:11], v6, off nt
.LBB0_81:                               ;   in Loop: Header=BB0_17 Depth=1
	s_or_b64 exec, exec, s[40:41]
	s_and_saveexec_b64 s[40:41], s[34:35]
	s_cbranch_execz .LBB0_87
; %bb.82:                               ;   in Loop: Header=BB0_17 Depth=1
	s_and_saveexec_b64 s[42:43], s[14:15]
	s_cbranch_execnz .LBB0_100
; %bb.83:                               ;   in Loop: Header=BB0_17 Depth=1
	s_or_b64 exec, exec, s[42:43]
	s_and_saveexec_b64 s[14:15], s[0:1]
	s_cbranch_execnz .LBB0_101
.LBB0_84:                               ;   in Loop: Header=BB0_17 Depth=1
	s_or_b64 exec, exec, s[14:15]
	s_and_saveexec_b64 s[0:1], s[10:11]
	s_cbranch_execnz .LBB0_102
.LBB0_85:                               ;   in Loop: Header=BB0_17 Depth=1
	s_or_b64 exec, exec, s[0:1]
	s_and_b64 exec, exec, s[8:9]
	s_cbranch_execz .LBB0_87
.LBB0_86:                               ;   in Loop: Header=BB0_17 Depth=1
	v_max_f32_e32 v6, v8, v8
	v_max_f32_e64 v8, s27, s27
	v_min_f32_e32 v10, v6, v8
	v_mul_f32_e32 v6, s26, v10
	v_mul_f32_e32 v6, 0xbfb8aa3b, v6
	v_exp_f32_e32 v11, v6
	v_max_f32_e64 v12, -s27, -s27
	v_max_f32_e32 v9, v9, v9
	v_max_f32_e32 v9, v9, v12
	v_add_f32_e32 v11, 1.0, v11
	v_div_scale_f32 v13, s[0:1], v11, v11, 1.0
	v_rcp_f32_e32 v14, v13
	v_min_f32_e32 v8, v9, v8
	v_add_f32_e32 v8, 1.0, v8
	v_lshl_add_u64 v[6:7], v[36:37], 2, v[22:23]
	v_fma_f32 v9, -v13, v14, 1.0
	v_fmac_f32_e32 v14, v9, v14
	v_div_scale_f32 v9, vcc, 1.0, v11, 1.0
	v_mul_f32_e32 v12, v9, v14
	v_fma_f32 v15, -v13, v12, v9
	v_fmac_f32_e32 v12, v15, v14
	v_fma_f32 v9, -v13, v12, v9
	v_div_fmas_f32 v9, v9, v14, v12
	v_div_fixup_f32 v9, v9, v11, 1.0
	v_mul_f32_e32 v9, v10, v9
	v_mul_f32_e32 v8, v8, v9
	global_store_dword v[6:7], v8, off nt
.LBB0_87:                               ;   in Loop: Header=BB0_17 Depth=1
	s_or_b64 exec, exec, s[40:41]
                                        ; implicit-def: $vgpr22
                                        ; implicit-def: $vgpr6_vgpr7_vgpr8_vgpr9
                                        ; implicit-def: $vgpr23
                                        ; implicit-def: $vgpr10_vgpr11_vgpr12_vgpr13
                                        ; implicit-def: $vgpr24
                                        ; implicit-def: $vgpr14_vgpr15_vgpr16_vgpr17
                                        ; implicit-def: $vgpr25
                                        ; implicit-def: $vgpr18_vgpr19_vgpr20_vgpr21
.LBB0_88:                               ;   in Loop: Header=BB0_17 Depth=1
	s_andn2_saveexec_b64 s[0:1], s[38:39]
	s_cbranch_execz .LBB0_16
; %bb.89:                               ;   in Loop: Header=BB0_17 Depth=1
	v_cmp_gt_i32_e32 vcc, s29, v25
	s_and_saveexec_b64 s[8:9], vcc
	s_cbranch_execnz .LBB0_93
; %bb.90:                               ;   in Loop: Header=BB0_17 Depth=1
	s_or_b64 exec, exec, s[8:9]
	v_cmp_gt_i32_e32 vcc, s29, v24
	s_and_saveexec_b64 s[8:9], vcc
	s_cbranch_execnz .LBB0_94
.LBB0_91:                               ;   in Loop: Header=BB0_17 Depth=1
	s_or_b64 exec, exec, s[8:9]
	v_cmp_gt_i32_e32 vcc, s29, v23
	s_and_saveexec_b64 s[8:9], vcc
	s_cbranch_execnz .LBB0_95
.LBB0_92:                               ;   in Loop: Header=BB0_17 Depth=1
	s_or_b64 exec, exec, s[8:9]
	v_cmp_gt_i32_e32 vcc, s29, v22
	s_and_saveexec_b64 s[8:9], vcc
	s_cbranch_execz .LBB0_15
	s_branch .LBB0_96
.LBB0_93:                               ;   in Loop: Header=BB0_17 Depth=1
	v_max_f32_e64 v41, s27, s27
	v_max_f32_e32 v20, v20, v20
	v_max_f32_e32 v29, v21, v21
	v_min_f32_e32 v21, v20, v41
	v_mul_f32_e64 v20, v21, -s26
	v_mul_f32_e32 v20, 0x3fb8aa3b, v20
	v_max_f32_e32 v18, v18, v18
	v_exp_f32_e32 v27, v20
	v_min_f32_e32 v20, v18, v41
	v_mul_f32_e64 v18, v20, -s26
	v_mul_f32_e32 v18, 0x3fb8aa3b, v18
	v_exp_f32_e32 v26, v18
	v_max_f32_e64 v28, -s27, -s27
	v_max_f32_e32 v18, v29, v28
	v_min_f32_e32 v29, v18, v41
	v_max_f32_e32 v42, v19, v19
	v_pk_add_f32 v[18:19], v[26:27], 1.0 op_sel_hi:[1,0]
	v_max_f32_e32 v26, v42, v28
	v_div_scale_f32 v43, s[10:11], v19, v19, 1.0
	v_rcp_f32_e32 v44, v43
	v_min_f32_e32 v28, v26, v41
	v_pk_add_f32 v[26:27], v[28:29], 1.0 op_sel_hi:[1,0]
	v_fma_f32 v28, -v43, v44, 1.0
	v_fmac_f32_e32 v44, v28, v44
	v_div_scale_f32 v28, vcc, 1.0, v19, 1.0
	v_mul_f32_e32 v29, v28, v44
	v_fma_f32 v41, -v43, v29, v28
	v_fmac_f32_e32 v29, v41, v44
	v_div_scale_f32 v41, s[10:11], v18, v18, 1.0
	v_rcp_f32_e32 v42, v41
	v_fma_f32 v28, -v43, v29, v28
	v_div_fmas_f32 v28, v28, v44, v29
	v_div_fixup_f32 v19, v28, v19, 1.0
	v_fma_f32 v28, -v41, v42, 1.0
	v_fmac_f32_e32 v42, v28, v42
	v_div_scale_f32 v28, vcc, 1.0, v18, 1.0
	v_mul_f32_e32 v29, v28, v42
	v_fma_f32 v43, -v41, v29, v28
	v_fmac_f32_e32 v29, v43, v42
	v_fma_f32 v28, -v41, v29, v28
	v_div_fmas_f32 v28, v28, v42, v29
	v_div_fixup_f32 v18, v28, v18, 1.0
	v_pk_mul_f32 v[18:19], v[20:21], v[18:19]
	v_mad_i64_i32 v[20:21], s[10:11], v25, s46, 0
	v_pk_mul_f32 v[18:19], v[26:27], v[18:19]
	v_lshl_add_u64 v[20:21], v[20:21], 2, v[34:35]
	global_store_dwordx2 v[20:21], v[18:19], off
	s_or_b64 exec, exec, s[8:9]
	v_cmp_gt_i32_e32 vcc, s29, v24
	s_and_saveexec_b64 s[8:9], vcc
	s_cbranch_execz .LBB0_91
.LBB0_94:                               ;   in Loop: Header=BB0_17 Depth=1
	v_max_f32_e32 v14, v14, v14
	v_max_f32_e64 v25, s27, s27
	v_min_f32_e32 v18, v14, v25
	v_mul_f32_e64 v14, v18, -s26
	v_mul_f32_e32 v14, 0x3fb8aa3b, v14
	v_exp_f32_e32 v20, v14
	v_max_f32_e32 v14, v16, v16
	v_min_f32_e32 v19, v14, v25
	v_mul_f32_e64 v14, v19, -s26
	v_mul_f32_e32 v14, 0x3fb8aa3b, v14
	v_exp_f32_e32 v21, v14
	v_max_f32_e64 v26, -s27, -s27
	v_max_f32_e32 v14, v15, v15
	v_max_f32_e32 v15, v17, v17
	v_pk_add_f32 v[20:21], v[20:21], 1.0 op_sel_hi:[1,0]
	v_max_f32_e32 v14, v14, v26
	v_div_scale_f32 v16, s[10:11], v21, v21, 1.0
	v_rcp_f32_e32 v27, v16
	v_max_f32_e32 v15, v15, v26
	v_min_f32_e32 v14, v14, v25
	v_min_f32_e32 v15, v15, v25
	v_fma_f32 v17, -v16, v27, 1.0
	v_fmac_f32_e32 v27, v17, v27
	v_div_scale_f32 v17, vcc, 1.0, v21, 1.0
	v_mul_f32_e32 v25, v17, v27
	v_fma_f32 v26, -v16, v25, v17
	v_fmac_f32_e32 v25, v26, v27
	v_div_scale_f32 v26, s[10:11], v20, v20, 1.0
	v_rcp_f32_e32 v28, v26
	v_fma_f32 v16, -v16, v25, v17
	v_div_fmas_f32 v16, v16, v27, v25
	v_div_fixup_f32 v17, v16, v21, 1.0
	v_fma_f32 v16, -v26, v28, 1.0
	v_fmac_f32_e32 v28, v16, v28
	v_div_scale_f32 v16, vcc, 1.0, v20, 1.0
	v_mul_f32_e32 v21, v16, v28
	v_fma_f32 v25, -v26, v21, v16
	v_fmac_f32_e32 v21, v25, v28
	v_fma_f32 v16, -v26, v21, v16
	v_div_fmas_f32 v16, v16, v28, v21
	v_div_fixup_f32 v16, v16, v20, 1.0
	v_pk_mul_f32 v[16:17], v[18:19], v[16:17]
	v_pk_add_f32 v[14:15], v[14:15], 1.0 op_sel_hi:[1,0]
	s_nop 0
	v_pk_mul_f32 v[14:15], v[14:15], v[16:17]
	v_mad_i64_i32 v[16:17], s[10:11], v24, s46, 0
	v_lshl_add_u64 v[16:17], v[16:17], 2, v[34:35]
	global_store_dwordx2 v[16:17], v[14:15], off
	s_or_b64 exec, exec, s[8:9]
	v_cmp_gt_i32_e32 vcc, s29, v23
	s_and_saveexec_b64 s[8:9], vcc
	s_cbranch_execz .LBB0_92
.LBB0_95:                               ;   in Loop: Header=BB0_17 Depth=1
	v_max_f32_e32 v10, v10, v10
	v_max_f32_e64 v18, s27, s27
	v_min_f32_e32 v14, v10, v18
	v_mul_f32_e64 v10, v14, -s26
	v_mul_f32_e32 v10, 0x3fb8aa3b, v10
	v_exp_f32_e32 v16, v10
	v_max_f32_e32 v10, v12, v12
	v_min_f32_e32 v15, v10, v18
	v_mul_f32_e64 v10, v15, -s26
	v_mul_f32_e32 v10, 0x3fb8aa3b, v10
	v_exp_f32_e32 v17, v10
	v_max_f32_e64 v19, -s27, -s27
	v_max_f32_e32 v10, v11, v11
	v_max_f32_e32 v11, v13, v13
	v_pk_add_f32 v[16:17], v[16:17], 1.0 op_sel_hi:[1,0]
	v_max_f32_e32 v10, v10, v19
	v_div_scale_f32 v12, s[10:11], v17, v17, 1.0
	v_rcp_f32_e32 v20, v12
	v_max_f32_e32 v11, v11, v19
	v_min_f32_e32 v10, v10, v18
	v_min_f32_e32 v11, v11, v18
	v_fma_f32 v13, -v12, v20, 1.0
	v_fmac_f32_e32 v20, v13, v20
	v_div_scale_f32 v13, vcc, 1.0, v17, 1.0
	v_mul_f32_e32 v18, v13, v20
	v_fma_f32 v19, -v12, v18, v13
	v_fmac_f32_e32 v18, v19, v20
	v_div_scale_f32 v19, s[10:11], v16, v16, 1.0
	v_rcp_f32_e32 v21, v19
	v_fma_f32 v12, -v12, v18, v13
	v_div_fmas_f32 v12, v12, v20, v18
	v_div_fixup_f32 v13, v12, v17, 1.0
	v_fma_f32 v12, -v19, v21, 1.0
	v_fmac_f32_e32 v21, v12, v21
	v_div_scale_f32 v12, vcc, 1.0, v16, 1.0
	v_mul_f32_e32 v17, v12, v21
	v_fma_f32 v18, -v19, v17, v12
	v_fmac_f32_e32 v17, v18, v21
	v_fma_f32 v12, -v19, v17, v12
	v_div_fmas_f32 v12, v12, v21, v17
	v_div_fixup_f32 v12, v12, v16, 1.0
	v_pk_mul_f32 v[12:13], v[14:15], v[12:13]
	v_pk_add_f32 v[10:11], v[10:11], 1.0 op_sel_hi:[1,0]
	s_nop 0
	v_pk_mul_f32 v[10:11], v[10:11], v[12:13]
	v_mad_i64_i32 v[12:13], s[10:11], v23, s46, 0
	v_lshl_add_u64 v[12:13], v[12:13], 2, v[34:35]
	global_store_dwordx2 v[12:13], v[10:11], off
	s_or_b64 exec, exec, s[8:9]
	v_cmp_gt_i32_e32 vcc, s29, v22
	s_and_saveexec_b64 s[8:9], vcc
	s_cbranch_execz .LBB0_15
.LBB0_96:                               ;   in Loop: Header=BB0_17 Depth=1
	v_max_f32_e32 v6, v6, v6
	v_max_f32_e64 v14, s27, s27
	v_min_f32_e32 v10, v6, v14
	v_mul_f32_e64 v6, v10, -s26
	v_mul_f32_e32 v6, 0x3fb8aa3b, v6
	v_exp_f32_e32 v12, v6
	v_max_f32_e32 v6, v8, v8
	v_min_f32_e32 v11, v6, v14
	v_mul_f32_e64 v6, v11, -s26
	v_mul_f32_e32 v6, 0x3fb8aa3b, v6
	v_exp_f32_e32 v13, v6
	v_max_f32_e64 v15, -s27, -s27
	v_max_f32_e32 v6, v7, v7
	v_max_f32_e32 v7, v9, v9
	v_pk_add_f32 v[12:13], v[12:13], 1.0 op_sel_hi:[1,0]
	v_max_f32_e32 v6, v6, v15
	v_div_scale_f32 v8, s[10:11], v13, v13, 1.0
	v_rcp_f32_e32 v16, v8
	v_max_f32_e32 v7, v7, v15
	v_min_f32_e32 v6, v6, v14
	v_min_f32_e32 v7, v7, v14
	v_fma_f32 v9, -v8, v16, 1.0
	v_fmac_f32_e32 v16, v9, v16
	v_div_scale_f32 v9, vcc, 1.0, v13, 1.0
	v_mul_f32_e32 v14, v9, v16
	v_fma_f32 v15, -v8, v14, v9
	v_fmac_f32_e32 v14, v15, v16
	v_div_scale_f32 v15, s[10:11], v12, v12, 1.0
	v_rcp_f32_e32 v17, v15
	v_fma_f32 v8, -v8, v14, v9
	v_div_fmas_f32 v8, v8, v16, v14
	v_div_fixup_f32 v9, v8, v13, 1.0
	v_fma_f32 v8, -v15, v17, 1.0
	v_fmac_f32_e32 v17, v8, v17
	v_div_scale_f32 v8, vcc, 1.0, v12, 1.0
	v_mul_f32_e32 v13, v8, v17
	v_fma_f32 v14, -v15, v13, v8
	v_fmac_f32_e32 v13, v14, v17
	v_fma_f32 v8, -v15, v13, v8
	v_div_fmas_f32 v8, v8, v17, v13
	v_div_fixup_f32 v8, v8, v12, 1.0
	v_pk_mul_f32 v[8:9], v[10:11], v[8:9]
	v_pk_add_f32 v[6:7], v[6:7], 1.0 op_sel_hi:[1,0]
	s_nop 0
	v_pk_mul_f32 v[6:7], v[6:7], v[8:9]
	v_mad_i64_i32 v[8:9], s[10:11], v22, s46, 0
	v_lshl_add_u64 v[8:9], v[8:9], 2, v[34:35]
	global_store_dwordx2 v[8:9], v[6:7], off
	s_branch .LBB0_15
.LBB0_97:                               ;   in Loop: Header=BB0_17 Depth=1
	v_max_f32_e32 v18, v18, v18
	v_max_f32_e64 v41, s27, s27
	v_min_f32_e32 v18, v18, v41
	v_mul_f32_e32 v42, s26, v18
	v_mul_f32_e32 v42, 0xbfb8aa3b, v42
	v_exp_f32_e32 v44, v42
	v_max_f32_e64 v45, -s27, -s27
	v_max_f32_e32 v19, v19, v19
	v_max_f32_e32 v19, v19, v45
	v_add_f32_e32 v44, 1.0, v44
	v_div_scale_f32 v46, s[50:51], v44, v44, 1.0
	v_rcp_f32_e32 v47, v46
	v_min_f32_e32 v19, v19, v41
	v_add_f32_e32 v19, 1.0, v19
	v_lshl_add_u64 v[42:43], v[32:33], 2, v[28:29]
	v_fma_f32 v41, -v46, v47, 1.0
	v_fmac_f32_e32 v47, v41, v47
	v_div_scale_f32 v41, vcc, 1.0, v44, 1.0
	v_mul_f32_e32 v45, v41, v47
	v_fma_f32 v48, -v46, v45, v41
	v_fmac_f32_e32 v45, v48, v47
	v_fma_f32 v41, -v46, v45, v41
	v_div_fmas_f32 v41, v41, v47, v45
	v_div_fixup_f32 v41, v41, v44, 1.0
	v_mul_f32_e32 v18, v18, v41
	v_mul_f32_e32 v18, v19, v18
	global_store_dword v[42:43], v18, off nt
	s_or_b64 exec, exec, s[42:43]
	s_and_saveexec_b64 s[42:43], s[0:1]
	s_cbranch_execz .LBB0_78
.LBB0_98:                               ;   in Loop: Header=BB0_17 Depth=1
	v_max_f32_e32 v14, v14, v14
	v_max_f32_e64 v41, s27, s27
	v_min_f32_e32 v14, v14, v41
	v_mul_f32_e32 v18, s26, v14
	v_mul_f32_e32 v18, 0xbfb8aa3b, v18
	v_exp_f32_e32 v42, v18
	v_max_f32_e64 v43, -s27, -s27
	v_max_f32_e32 v15, v15, v15
	v_max_f32_e32 v15, v15, v43
	v_add_f32_e32 v42, 1.0, v42
	v_div_scale_f32 v44, s[50:51], v42, v42, 1.0
	v_rcp_f32_e32 v45, v44
	v_min_f32_e32 v15, v15, v41
	v_add_f32_e32 v15, 1.0, v15
	v_lshl_add_u64 v[18:19], v[32:33], 2, v[26:27]
	v_fma_f32 v41, -v44, v45, 1.0
	v_fmac_f32_e32 v45, v41, v45
	v_div_scale_f32 v41, vcc, 1.0, v42, 1.0
	v_mul_f32_e32 v43, v41, v45
	v_fma_f32 v46, -v44, v43, v41
	v_fmac_f32_e32 v43, v46, v45
	v_fma_f32 v41, -v44, v43, v41
	v_div_fmas_f32 v41, v41, v45, v43
	v_div_fixup_f32 v41, v41, v42, 1.0
	v_mul_f32_e32 v14, v14, v41
	v_mul_f32_e32 v14, v15, v14
	global_store_dword v[18:19], v14, off nt
	s_or_b64 exec, exec, s[42:43]
	s_and_saveexec_b64 s[42:43], s[10:11]
	s_cbranch_execz .LBB0_79
.LBB0_99:                               ;   in Loop: Header=BB0_17 Depth=1
	v_max_f32_e32 v10, v10, v10
	v_max_f32_e64 v18, s27, s27
	v_min_f32_e32 v10, v10, v18
	v_mul_f32_e32 v14, s26, v10
	v_mul_f32_e32 v14, 0xbfb8aa3b, v14
	v_exp_f32_e32 v19, v14
	v_max_f32_e64 v41, -s27, -s27
	v_max_f32_e32 v11, v11, v11
	v_max_f32_e32 v11, v11, v41
	v_add_f32_e32 v19, 1.0, v19
	v_div_scale_f32 v42, s[50:51], v19, v19, 1.0
	v_rcp_f32_e32 v43, v42
	v_min_f32_e32 v11, v11, v18
	v_add_f32_e32 v11, 1.0, v11
	v_lshl_add_u64 v[14:15], v[32:33], 2, v[24:25]
	v_fma_f32 v18, -v42, v43, 1.0
	v_fmac_f32_e32 v43, v18, v43
	v_div_scale_f32 v18, vcc, 1.0, v19, 1.0
	v_mul_f32_e32 v41, v18, v43
	v_fma_f32 v44, -v42, v41, v18
	v_fmac_f32_e32 v41, v44, v43
	v_fma_f32 v18, -v42, v41, v18
	v_div_fmas_f32 v18, v18, v43, v41
	v_div_fixup_f32 v18, v18, v19, 1.0
	v_mul_f32_e32 v10, v10, v18
	v_mul_f32_e32 v10, v11, v10
	global_store_dword v[14:15], v10, off nt
	s_or_b64 exec, exec, s[42:43]
	s_and_b64 exec, exec, s[8:9]
	s_cbranch_execnz .LBB0_80
	s_branch .LBB0_81
.LBB0_100:                              ;   in Loop: Header=BB0_17 Depth=1
	v_max_f32_e32 v6, v20, v20
	v_max_f32_e64 v10, s27, s27
	v_min_f32_e32 v11, v6, v10
	v_mul_f32_e32 v6, s26, v11
	v_mul_f32_e32 v6, 0xbfb8aa3b, v6
	v_exp_f32_e32 v14, v6
	v_max_f32_e64 v15, -s27, -s27
	v_max_f32_e32 v20, v21, v21
	v_max_f32_e32 v15, v20, v15
	v_add_f32_e32 v14, 1.0, v14
	v_div_scale_f32 v18, s[14:15], v14, v14, 1.0
	v_rcp_f32_e32 v19, v18
	v_min_f32_e32 v10, v15, v10
	v_add_f32_e32 v10, 1.0, v10
	v_lshl_add_u64 v[6:7], v[36:37], 2, v[28:29]
	v_fma_f32 v15, -v18, v19, 1.0
	v_fmac_f32_e32 v19, v15, v19
	v_div_scale_f32 v15, vcc, 1.0, v14, 1.0
	v_mul_f32_e32 v20, v15, v19
	v_fma_f32 v21, -v18, v20, v15
	v_fmac_f32_e32 v20, v21, v19
	v_fma_f32 v15, -v18, v20, v15
	v_div_fmas_f32 v15, v15, v19, v20
	v_div_fixup_f32 v14, v15, v14, 1.0
	v_mul_f32_e32 v11, v11, v14
	v_mul_f32_e32 v10, v10, v11
	global_store_dword v[6:7], v10, off nt
	s_or_b64 exec, exec, s[42:43]
	s_and_saveexec_b64 s[14:15], s[0:1]
	s_cbranch_execz .LBB0_84
.LBB0_101:                              ;   in Loop: Header=BB0_17 Depth=1
	v_max_f32_e32 v6, v16, v16
	v_max_f32_e64 v10, s27, s27
	v_min_f32_e32 v11, v6, v10
	v_mul_f32_e32 v6, s26, v11
	v_mul_f32_e32 v6, 0xbfb8aa3b, v6
	v_exp_f32_e32 v14, v6
	v_max_f32_e64 v15, -s27, -s27
	v_max_f32_e32 v17, v17, v17
	v_max_f32_e32 v15, v17, v15
	v_add_f32_e32 v14, 1.0, v14
	v_div_scale_f32 v16, s[0:1], v14, v14, 1.0
	v_rcp_f32_e32 v18, v16
	v_min_f32_e32 v10, v15, v10
	v_add_f32_e32 v10, 1.0, v10
	v_lshl_add_u64 v[6:7], v[36:37], 2, v[26:27]
	v_fma_f32 v15, -v16, v18, 1.0
	v_fmac_f32_e32 v18, v15, v18
	v_div_scale_f32 v15, vcc, 1.0, v14, 1.0
	v_mul_f32_e32 v17, v15, v18
	v_fma_f32 v19, -v16, v17, v15
	v_fmac_f32_e32 v17, v19, v18
	v_fma_f32 v15, -v16, v17, v15
	v_div_fmas_f32 v15, v15, v18, v17
	v_div_fixup_f32 v14, v15, v14, 1.0
	v_mul_f32_e32 v11, v11, v14
	v_mul_f32_e32 v10, v10, v11
	global_store_dword v[6:7], v10, off nt
	s_or_b64 exec, exec, s[14:15]
	s_and_saveexec_b64 s[0:1], s[10:11]
	s_cbranch_execz .LBB0_85
.LBB0_102:                              ;   in Loop: Header=BB0_17 Depth=1
	v_max_f32_e32 v6, v12, v12
	v_max_f32_e64 v10, s27, s27
	v_min_f32_e32 v11, v6, v10
	v_mul_f32_e32 v6, s26, v11
	v_mul_f32_e32 v6, 0xbfb8aa3b, v6
	v_exp_f32_e32 v12, v6
	v_max_f32_e64 v14, -s27, -s27
	v_max_f32_e32 v13, v13, v13
	v_max_f32_e32 v13, v13, v14
	v_add_f32_e32 v12, 1.0, v12
	v_div_scale_f32 v15, s[10:11], v12, v12, 1.0
	v_rcp_f32_e32 v16, v15
	v_min_f32_e32 v10, v13, v10
	v_add_f32_e32 v10, 1.0, v10
	v_lshl_add_u64 v[6:7], v[36:37], 2, v[24:25]
	v_fma_f32 v13, -v15, v16, 1.0
	v_fmac_f32_e32 v16, v13, v16
	v_div_scale_f32 v13, vcc, 1.0, v12, 1.0
	v_mul_f32_e32 v14, v13, v16
	v_fma_f32 v17, -v15, v14, v13
	v_fmac_f32_e32 v14, v17, v16
	v_fma_f32 v13, -v15, v14, v13
	v_div_fmas_f32 v13, v13, v16, v14
	v_div_fixup_f32 v12, v13, v12, 1.0
	v_mul_f32_e32 v11, v11, v12
	v_mul_f32_e32 v10, v10, v11
	global_store_dword v[6:7], v10, off nt
	s_or_b64 exec, exec, s[0:1]
	s_and_b64 exec, exec, s[8:9]
	s_cbranch_execnz .LBB0_86
	s_branch .LBB0_87
.LBB0_103:
	s_endpgm
	.section	.rodata,"a",@progbits
	.p2align	6, 0x0
	.amdhsa_kernel _Z27moe_mlp1_swiglu_mfma_kernelPKiiiPKfPfPK14__hip_bfloat16S6_iixxff
		.amdhsa_group_segment_fixed_size 17408
		.amdhsa_private_segment_fixed_size 0
		.amdhsa_kernarg_size 336
		.amdhsa_user_sgpr_count 2
		.amdhsa_user_sgpr_dispatch_ptr 0
		.amdhsa_user_sgpr_queue_ptr 0
		.amdhsa_user_sgpr_kernarg_segment_ptr 1
		.amdhsa_user_sgpr_dispatch_id 0
		.amdhsa_user_sgpr_kernarg_preload_length 0
		.amdhsa_user_sgpr_kernarg_preload_offset 0
		.amdhsa_user_sgpr_private_segment_size 0
		.amdhsa_uses_dynamic_stack 0
		.amdhsa_enable_private_segment 0
		.amdhsa_system_sgpr_workgroup_id_x 1
		.amdhsa_system_sgpr_workgroup_id_y 1
		.amdhsa_system_sgpr_workgroup_id_z 1
		.amdhsa_system_sgpr_workgroup_info 0
		.amdhsa_system_vgpr_workitem_id 0
		.amdhsa_next_free_vgpr 68
		.amdhsa_next_free_sgpr 52
		.amdhsa_accum_offset 68
		.amdhsa_reserve_vcc 1
		.amdhsa_float_round_mode_32 0
		.amdhsa_float_round_mode_16_64 0
		.amdhsa_float_denorm_mode_32 3
		.amdhsa_float_denorm_mode_16_64 3
		.amdhsa_dx10_clamp 1
		.amdhsa_ieee_mode 1
		.amdhsa_fp16_overflow 0
		.amdhsa_tg_split 0
		.amdhsa_exception_fp_ieee_invalid_op 0
		.amdhsa_exception_fp_denorm_src 0
		.amdhsa_exception_fp_ieee_div_zero 0
		.amdhsa_exception_fp_ieee_overflow 0
		.amdhsa_exception_fp_ieee_underflow 0
		.amdhsa_exception_fp_ieee_inexact 0
		.amdhsa_exception_int_div_zero 0
	.end_amdhsa_kernel
	.text
.Lfunc_end0:
	.size	_Z27moe_mlp1_swiglu_mfma_kernelPKiiiPKfPfPK14__hip_bfloat16S6_iixxff, .Lfunc_end0-_Z27moe_mlp1_swiglu_mfma_kernelPKiiiPKfPfPK14__hip_bfloat16S6_iixxff
                                        ; -- End function
	.set _Z27moe_mlp1_swiglu_mfma_kernelPKiiiPKfPfPK14__hip_bfloat16S6_iixxff.num_vgpr, 68
	.set _Z27moe_mlp1_swiglu_mfma_kernelPKiiiPKfPfPK14__hip_bfloat16S6_iixxff.num_agpr, 0
	.set _Z27moe_mlp1_swiglu_mfma_kernelPKiiiPKfPfPK14__hip_bfloat16S6_iixxff.numbered_sgpr, 52
	.set _Z27moe_mlp1_swiglu_mfma_kernelPKiiiPKfPfPK14__hip_bfloat16S6_iixxff.num_named_barrier, 0
	.set _Z27moe_mlp1_swiglu_mfma_kernelPKiiiPKfPfPK14__hip_bfloat16S6_iixxff.private_seg_size, 0
	.set _Z27moe_mlp1_swiglu_mfma_kernelPKiiiPKfPfPK14__hip_bfloat16S6_iixxff.uses_vcc, 1
	.set _Z27moe_mlp1_swiglu_mfma_kernelPKiiiPKfPfPK14__hip_bfloat16S6_iixxff.uses_flat_scratch, 0
	.set _Z27moe_mlp1_swiglu_mfma_kernelPKiiiPKfPfPK14__hip_bfloat16S6_iixxff.has_dyn_sized_stack, 0
	.set _Z27moe_mlp1_swiglu_mfma_kernelPKiiiPKfPfPK14__hip_bfloat16S6_iixxff.has_recursion, 0
	.set _Z27moe_mlp1_swiglu_mfma_kernelPKiiiPKfPfPK14__hip_bfloat16S6_iixxff.has_indirect_call, 0
	.section	.AMDGPU.csdata,"",@progbits
; Kernel info:
; codeLenInByte = 5408
; TotalNumSgprs: 58
; NumVgprs: 68
; NumAgprs: 0
; TotalNumVgprs: 68
; ScratchSize: 0
; MemoryBound: 0
; FloatMode: 240
; IeeeMode: 1
; LDSByteSize: 17408 bytes/workgroup (compile time only)
; SGPRBlocks: 7
; VGPRBlocks: 8
; NumSGPRsForWavesPerEU: 58
; NumVGPRsForWavesPerEU: 68
; AccumOffset: 68
; Occupancy: 7
; WaveLimiterHint : 1
; COMPUTE_PGM_RSRC2:SCRATCH_EN: 0
; COMPUTE_PGM_RSRC2:USER_SGPR: 2
; COMPUTE_PGM_RSRC2:TRAP_HANDLER: 0
; COMPUTE_PGM_RSRC2:TGID_X_EN: 1
; COMPUTE_PGM_RSRC2:TGID_Y_EN: 1
; COMPUTE_PGM_RSRC2:TGID_Z_EN: 1
; COMPUTE_PGM_RSRC2:TIDIG_COMP_CNT: 0
; COMPUTE_PGM_RSRC3_GFX90A:ACCUM_OFFSET: 16
; COMPUTE_PGM_RSRC3_GFX90A:TG_SPLIT: 0
	.text
	.protected	_Z28moe_mlp2_scatter_mfma_kernelPKiiiPKfS0_S2_PfPK14__hip_bfloat16S6_iixx ; -- Begin function _Z28moe_mlp2_scatter_mfma_kernelPKiiiPKfS0_S2_PfPK14__hip_bfloat16S6_iixx
	.globl	_Z28moe_mlp2_scatter_mfma_kernelPKiiiPKfS0_S2_PfPK14__hip_bfloat16S6_iixx
	.p2align	8
	.type	_Z28moe_mlp2_scatter_mfma_kernelPKiiiPKfS0_S2_PfPK14__hip_bfloat16S6_iixx,@function
_Z28moe_mlp2_scatter_mfma_kernelPKiiiPKfS0_S2_PfPK14__hip_bfloat16S6_iixx: ; @_Z28moe_mlp2_scatter_mfma_kernelPKiiiPKfS0_S2_PfPK14__hip_bfloat16S6_iixx
; %bb.0:
	s_load_dwordx2 s[6:7], s[0:1], 0x8
	s_waitcnt lgkmcnt(0)
	s_cmp_ge_i32 s4, s7
	s_cbranch_scc1 .LBB1_120
; %bb.1:
	s_load_dwordx2 s[8:9], s[0:1], 0x0
	s_load_dwordx2 s[22:23], s[0:1], 0x40
	s_add_i32 s4, s6, s4
	s_mul_i32 s4, s4, 3
	s_ashr_i32 s5, s4, 31
	s_lshl_b64 s[4:5], s[4:5], 2
	s_waitcnt lgkmcnt(0)
	s_add_u32 s6, s8, s4
	s_addc_u32 s7, s9, s5
	s_load_dwordx2 s[34:35], s[6:7], 0x4
	s_cmp_eq_u32 s23, 0
	s_cselect_b64 s[4:5], -1, 0
	s_waitcnt lgkmcnt(0)
	s_cmp_eq_u32 s35, 0
	s_cselect_b64 s[8:9], -1, 0
	s_or_b64 s[4:5], s[4:5], s[8:9]
	s_cmp_eq_u32 s22, 0
	s_cselect_b64 s[8:9], -1, 0
	s_or_b64 s[4:5], s[8:9], s[4:5]
	s_and_b64 vcc, exec, s[4:5]
	s_cbranch_vccnz .LBB1_120
; %bb.2:
	s_load_dword s18, s[6:7], 0x0
	s_load_dwordx2 s[4:5], s[0:1], 0x38
	s_load_dwordx4 s[12:15], s[0:1], 0x48
	s_mov_b64 s[8:9], 0
	s_waitcnt lgkmcnt(0)
	s_ashr_i32 s19, s18, 31
	s_cmp_eq_u64 s[4:5], 0
	s_cbranch_scc1 .LBB1_4
; %bb.3:
	s_mul_i32 s6, s14, s19
	s_mul_hi_u32 s7, s14, s18
	s_add_i32 s6, s7, s6
	s_mul_i32 s7, s15, s18
	s_add_i32 s7, s6, s7
	s_mul_i32 s6, s14, s18
	s_lshl_b64 s[6:7], s[6:7], 1
	s_add_u32 s8, s4, s6
	s_addc_u32 s9, s5, s7
.LBB1_4:
	s_lshl_b32 s14, s3, 8
	s_cmp_lt_i32 s14, s23
	s_cselect_b64 s[4:5], -1, 0
	s_lshl_b32 s15, s2, 6
	s_cmp_lt_i32 s15, s35
	s_cselect_b64 s[6:7], -1, 0
	s_and_b64 s[4:5], s[4:5], s[6:7]
	s_andn2_b64 vcc, exec, s[4:5]
	s_cbranch_vccnz .LBB1_120
; %bb.5:
	v_lshrrev_b32_e32 v2, 2, v0
	v_and_b32_e32 v1, 0xf0, v2
	v_or_b32_e32 v6, s14, v1
	v_and_b32_e32 v48, 12, v2
	v_or_b32_e32 v30, v6, v48
	s_cmp_lg_u64 s[8:9], 0
	s_cselect_b64 s[10:11], -1, 0
	v_cmp_gt_i32_e64 s[16:17], s23, v30
	v_mov_b32_e32 v2, 0
	s_and_b64 s[6:7], s[10:11], s[16:17]
	v_mov_b32_e32 v3, v2
	v_mov_b32_e32 v4, v2
	;; [unrolled: 1-line block ×3, first 2 shown]
	s_and_saveexec_b64 s[4:5], s[6:7]
	s_cbranch_execz .LBB1_7
; %bb.6:
	v_ashrrev_i32_e32 v31, 31, v30
	v_lshl_add_u64 v[4:5], v[30:31], 1, s[8:9]
	global_load_ushort v3, v[4:5], off
	v_mov_b32_e32 v9, v2
	v_mov_b32_e32 v10, v2
	;; [unrolled: 1-line block ×3, first 2 shown]
	s_waitcnt vmcnt(0)
	v_lshlrev_b32_e32 v8, 16, v3
	v_mov_b64_e32 v[2:3], v[8:9]
	v_mov_b64_e32 v[4:5], v[10:11]
.LBB1_7:
	s_or_b64 exec, exec, s[4:5]
	v_or_b32_e32 v7, 1, v30
	v_cmp_gt_i32_e64 s[20:21], s23, v7
	s_and_b64 s[6:7], s[10:11], s[20:21]
	s_and_saveexec_b64 s[4:5], s[6:7]
	s_cbranch_execz .LBB1_9
; %bb.8:
	v_ashrrev_i32_e32 v31, 31, v30
	v_lshl_add_u64 v[8:9], v[30:31], 1, s[8:9]
	global_load_ushort v3, v[8:9], off offset:2
	s_waitcnt vmcnt(0)
	v_lshlrev_b32_e32 v3, 16, v3
.LBB1_9:
	s_or_b64 exec, exec, s[4:5]
	v_or_b32_e32 v7, 2, v30
	v_cmp_gt_i32_e64 s[4:5], s23, v7
	s_and_b64 s[24:25], s[10:11], s[4:5]
	s_and_saveexec_b64 s[6:7], s[24:25]
	s_cbranch_execz .LBB1_11
; %bb.10:
	v_ashrrev_i32_e32 v31, 31, v30
	v_lshl_add_u64 v[8:9], v[30:31], 1, s[8:9]
	global_load_ushort v4, v[8:9], off offset:4
	s_waitcnt vmcnt(0)
	v_lshlrev_b32_e32 v4, 16, v4
.LBB1_11:
	s_or_b64 exec, exec, s[6:7]
	v_or_b32_e32 v7, 3, v30
	v_cmp_gt_i32_e32 vcc, s23, v7
	v_cmp_le_i32_e64 s[6:7], s23, v7
	s_and_b64 s[24:25], s[10:11], vcc
	s_and_saveexec_b64 s[10:11], s[24:25]
	s_cbranch_execz .LBB1_13
; %bb.12:
	v_ashrrev_i32_e32 v31, 31, v30
	v_lshl_add_u64 v[8:9], v[30:31], 1, s[8:9]
	global_load_ushort v5, v[8:9], off offset:6
	s_waitcnt vmcnt(0)
	v_lshlrev_b32_e32 v5, 16, v5
.LBB1_13:
	s_or_b64 exec, exec, s[10:11]
	s_add_i32 s3, s35, 63
	s_ashr_i32 s8, s3, 31
	s_lshr_b32 s8, s8, 26
	s_add_i32 s3, s3, s8
	s_ashr_i32 s3, s3, 6
	s_cmp_lt_u32 s35, 0xffffff82
	s_cselect_b64 s[8:9], -1, 0
	s_cmp_lt_i32 s2, s3
	s_cselect_b64 s[10:11], -1, 0
	s_and_b64 s[8:9], s[8:9], s[10:11]
	s_and_b64 vcc, exec, s[8:9]
	s_cbranch_vccz .LBB1_120
; %bb.14:
	s_load_dwordx8 s[24:31], s[0:1], 0x10
	s_add_i32 s8, s22, 63
	s_ashr_i32 s9, s8, 31
	s_lshr_b32 s9, s9, 26
	s_add_i32 s8, s8, s9
	s_mul_hi_i32 s11, s34, s22
	s_mul_i32 s10, s34, s22
	s_ashr_i32 s33, s8, 6
	s_ashr_i32 s9, s34, 31
	;; [unrolled: 1-line block ×3, first 2 shown]
	s_lshl_b64 s[10:11], s[10:11], 2
	s_mov_b32 s8, s34
	s_waitcnt lgkmcnt(0)
	s_add_u32 s10, s24, s10
	s_addc_u32 s11, s25, s11
	s_lshl_b64 s[36:37], s[8:9], 2
	s_add_u32 s26, s26, s36
	s_addc_u32 s27, s27, s37
	s_add_u32 s28, s28, s36
	s_addc_u32 s29, s29, s37
	v_lshlrev_b32_e32 v7, 2, v0
	v_and_b32_e32 v49, 15, v0
	v_and_b32_e32 v10, 60, v7
	s_cmp_gt_i32 s22, 0
	v_lshlrev_b32_e32 v8, 2, v10
	v_mov_b32_e32 v9, 0
	s_cselect_b64 s[38:39], -1, 0
	v_or_b32_e32 v6, v6, v49
	s_load_dwordx2 s[40:41], s[0:1], 0x30
	s_load_dword s34, s[0:1], 0x58
	s_max_i32 s0, s33, 1
	v_lshrrev_b32_e32 v50, 4, v0
	v_lshl_add_u64 v[32:33], s[10:11], 0, v[8:9]
	v_lshlrev_b32_e32 v7, 1, v10
	s_movk_i32 s42, 0x88
	v_cmp_gt_i32_e64 s[10:11], s23, v6
	v_lshlrev_b32_e32 v6, 1, v48
	s_lshl_b32 s48, s0, 6
	v_lshlrev_b32_e32 v8, 4, v49
	s_mul_i32 s0, s12, s19
	s_mul_hi_u32 s1, s12, s18
	v_mad_u32_u24 v51, v50, s42, v7
	v_mad_u32_u24 v52, v49, s42, v6
	v_lshl_add_u64 v[6:7], s[24:25], 0, v[8:9]
	s_mov_b64 s[24:25], 0x100
	s_add_i32 s0, s1, s0
	s_mul_i32 s1, s13, s18
	v_add3_u32 v1, s14, v1, v49
	v_lshl_add_u64 v[34:35], v[6:7], 0, s[24:25]
	s_add_i32 s1, s0, s1
	s_mul_i32 s0, s12, s18
	v_mad_i64_i32 v[6:7], s[12:13], s22, v1, 0
	v_lshlrev_b64 v[6:7], 1, v[6:7]
	v_lshrrev_b32_e32 v0, 1, v0
	v_lshl_add_u64 v[6:7], s[0:1], 1, v[6:7]
	v_and_b32_e32 v8, 24, v0
	v_lshl_add_u64 v[0:1], v[6:7], 0, v[8:9]
	s_waitcnt lgkmcnt(0)
	v_lshl_add_u64 v[0:1], s[40:41], 0, v[0:1]
	s_mov_b64 s[0:1], 0x64
	v_cndmask_b32_e64 v6, 0, 1, s[38:39]
	s_mov_b32 s47, s22
	v_cmp_gt_i32_e64 s[8:9], s22, v10
	v_ashrrev_i32_e32 v31, 31, v30
	v_add_u32_e32 v36, s15, v50
	s_lshl_b32 s49, s34, 6
	v_lshl_add_u64 v[0:1], v[0:1], 0, s[0:1]
	v_or_b32_e32 v53, 64, v10
	s_mov_b32 s50, 0x5040100
	v_cmp_ne_u32_e64 s[12:13], 1, v6
	s_mov_b32 s51, 0xffff
	s_mov_b64 s[38:39], 0x80
	s_branch .LBB1_17
.LBB1_15:                               ;   in Loop: Header=BB1_17 Depth=1
	s_or_b64 exec, exec, s[14:15]
.LBB1_16:                               ;   in Loop: Header=BB1_17 Depth=1
	s_or_b64 exec, exec, s[0:1]
	s_add_i32 s2, s34, s2
	s_cmp_lt_i32 s2, s3
	v_add_u32_e32 v36, s49, v36
	s_barrier
	s_cbranch_scc0 .LBB1_120
.LBB1_17:                               ; =>This Loop Header: Depth=1
                                        ;     Child Loop BB1_23 Depth 2
	s_lshl_b32 s42, s2, 6
	v_or_b32_e32 v8, s42, v50
	v_cmp_gt_i32_e64 s[14:15], s35, v8
	s_and_b64 s[18:19], s[14:15], s[8:9]
	v_mov_b32_e32 v6, 0
	v_mov_b32_e32 v7, 0
	s_and_saveexec_b64 s[0:1], s[18:19]
	s_cbranch_execz .LBB1_19
; %bb.18:                               ;   in Loop: Header=BB1_17 Depth=1
	v_mad_i64_i32 v[6:7], s[18:19], v8, s47, 0
	v_lshl_add_u64 v[6:7], v[6:7], 2, v[32:33]
	global_load_dwordx4 v[6:9], v[6:7], off
	s_waitcnt vmcnt(0)
	v_cvt_pk_bf16_f32 v6, v6, s0
	v_cvt_pk_bf16_f32 v7, v7, v8
	;; [unrolled: 1-line block ×3, first 2 shown]
	v_perm_b32 v6, v7, v6, s50
	v_alignbit_b32 v7, v8, v7, 16
.LBB1_19:                               ;   in Loop: Header=BB1_17 Depth=1
	s_or_b64 exec, exec, s[0:1]
	ds_write_b64 v51, v[6:7]
	v_mov_b64_e32 v[20:21], v[4:5]
	v_mov_b64_e32 v[16:17], v[4:5]
	;; [unrolled: 1-line block ×4, first 2 shown]
	s_and_b64 vcc, exec, s[12:13]
	v_mov_b64_e32 v[18:19], v[2:3]
	v_mov_b64_e32 v[14:15], v[2:3]
	v_mov_b64_e32 v[10:11], v[2:3]
	v_mov_b64_e32 v[6:7], v[2:3]
	s_waitcnt lgkmcnt(0)
	s_barrier
	s_cbranch_vccnz .LBB1_74
; %bb.20:                               ;   in Loop: Header=BB1_17 Depth=1
	v_ashrrev_i32_e32 v37, 31, v36
	v_lshl_add_u64 v[6:7], v[36:37], 2, s[36:37]
	v_mul_lo_u32 v7, s47, v7
	v_mul_lo_u32 v8, s46, v6
	v_mad_u64_u32 v[38:39], s[0:1], s47, v6, v[34:35]
	v_add3_u32 v39, v8, v39, v7
	v_mov_b64_e32 v[20:21], v[4:5]
	v_mov_b64_e32 v[16:17], v[4:5]
	;; [unrolled: 1-line block ×4, first 2 shown]
	s_mov_b32 s43, 0
	s_mov_b32 s44, 1
	s_waitcnt vmcnt(0)
	v_mov_b64_e32 v[40:41], v[0:1]
	v_mov_b64_e32 v[18:19], v[2:3]
	;; [unrolled: 1-line block ×5, first 2 shown]
	s_branch .LBB1_23
.LBB1_21:                               ;   in Loop: Header=BB1_23 Depth=2
	s_or_b64 exec, exec, s[18:19]
.LBB1_22:                               ;   in Loop: Header=BB1_23 Depth=2
	s_or_b64 exec, exec, s[0:1]
	ds_read2_b64 v[22:25], v54 offset0:8 offset1:12
	v_add_u32_e32 v26, 0x800, v54
	ds_read2_b64 v[26:29], v26 offset0:24 offset1:28
	s_add_i32 s43, s43, 64
	s_add_i32 s44, s44, 1
	s_waitcnt vmcnt(0) lgkmcnt(1)
	v_mfma_f32_16x16x16_bf16 v[18:21], v[46:47], v[22:23], v[18:21]
	v_add_u32_e32 v22, 0x1000, v54
	ds_read2_b64 v[56:59], v22 offset0:40 offset1:44
	v_add_u32_e32 v22, 0x1800, v54
	s_waitcnt lgkmcnt(1)
	v_mfma_f32_16x16x16_bf16 v[10:13], v[46:47], v[26:27], v[10:13]
	v_lshl_add_u64 v[38:39], v[38:39], 0, s[24:25]
	v_lshl_add_u64 v[40:41], v[40:41], 0, s[38:39]
	s_cmp_eq_u32 s48, s43
	s_waitcnt lgkmcnt(0)
	v_mfma_f32_16x16x16_bf16 v[6:9], v[46:47], v[56:57], v[6:9]
	ds_read2_b64 v[54:57], v22 offset0:56 offset1:60
	s_waitcnt lgkmcnt(0)
	s_barrier
	v_mfma_f32_16x16x16_bf16 v[60:63], v[46:47], v[54:55], v[14:17]
	v_mfma_f32_16x16x16_bf16 v[18:21], v[44:45], v[24:25], v[18:21]
	v_mfma_f32_16x16x16_bf16 v[14:17], v[44:45], v[28:29], v[10:13]
	v_mfma_f32_16x16x16_bf16 v[10:13], v[44:45], v[58:59], v[6:9]
	v_mfma_f32_16x16x16_bf16 v[6:9], v[44:45], v[56:57], v[60:63]
	s_cbranch_scc1 .LBB1_74
.LBB1_23:                               ;   Parent Loop BB1_17 Depth=1
                                        ; =>  This Inner Loop Header: Depth=2
	s_add_i32 s0, s44, -1
	s_and_b32 s45, s0, 1
	s_cmp_ge_i32 s44, s33
	s_cbranch_scc1 .LBB1_27
; %bb.24:                               ;   in Loop: Header=BB1_23 Depth=2
	v_add_u32_e32 v22, s43, v53
	v_cmp_gt_i32_e32 vcc, s22, v22
	s_and_b64 s[18:19], s[14:15], vcc
	v_mov_b32_e32 v22, 0
	v_mov_b32_e32 v23, 0
	s_and_saveexec_b64 s[0:1], s[18:19]
	s_cbranch_execz .LBB1_26
; %bb.25:                               ;   in Loop: Header=BB1_23 Depth=2
	global_load_dwordx4 v[22:25], v[38:39], off
	s_waitcnt vmcnt(0)
	v_cvt_pk_bf16_f32 v22, v22, s0
	v_cvt_pk_bf16_f32 v23, v23, v24
	;; [unrolled: 1-line block ×3, first 2 shown]
	v_perm_b32 v22, v23, v22, s50
	v_alignbit_b32 v23, v24, v23, 16
.LBB1_26:                               ;   in Loop: Header=BB1_23 Depth=2
	s_or_b64 exec, exec, s[0:1]
	s_xor_b32 s0, s45, 1
	s_mulk_i32 s0, 0x2200
	v_add_u32_e32 v24, s0, v51
	ds_write_b64 v24, v[22:23]
.LBB1_27:                               ;   in Loop: Header=BB1_23 Depth=2
	v_add_u32_e32 v37, s43, v48
	v_mov_b32_e32 v42, 0
	v_mov_b32_e32 v26, 0
	;; [unrolled: 1-line block ×3, first 2 shown]
	s_and_saveexec_b64 s[0:1], s[10:11]
	s_cbranch_execz .LBB1_39
; %bb.28:                               ;   in Loop: Header=BB1_23 Depth=2
	v_add_u32_e32 v22, 3, v37
	v_cmp_le_i32_e32 vcc, s22, v22
                                        ; implicit-def: $vgpr27
	s_and_saveexec_b64 s[18:19], vcc
	s_xor_b64 s[18:19], exec, s[18:19]
	s_cbranch_execz .LBB1_36
; %bb.29:                               ;   in Loop: Header=BB1_23 Depth=2
	v_cmp_gt_i32_e32 vcc, s22, v37
	v_mov_b32_e32 v27, 0
	v_mov_b32_e32 v26, 0
	s_and_saveexec_b64 s[40:41], vcc
	s_cbranch_execz .LBB1_31
; %bb.30:                               ;   in Loop: Header=BB1_23 Depth=2
	global_load_ushort v22, v[40:41], off offset:-100
	s_waitcnt vmcnt(0)
	v_and_b32_e32 v26, 0xffff, v22
.LBB1_31:                               ;   in Loop: Header=BB1_23 Depth=2
	s_or_b64 exec, exec, s[40:41]
	v_add_u32_e32 v22, 1, v37
	v_cmp_gt_i32_e32 vcc, s22, v22
	s_and_saveexec_b64 s[40:41], vcc
	s_cbranch_execz .LBB1_33
; %bb.32:                               ;   in Loop: Header=BB1_23 Depth=2
	global_load_ushort v22, v[40:41], off offset:-98
	s_waitcnt vmcnt(0)
	v_perm_b32 v26, v22, v26, s50
.LBB1_33:                               ;   in Loop: Header=BB1_23 Depth=2
	s_or_b64 exec, exec, s[40:41]
	v_add_u32_e32 v22, 2, v37
	v_cmp_gt_i32_e32 vcc, s22, v22
	s_and_saveexec_b64 s[40:41], vcc
	s_cbranch_execz .LBB1_35
; %bb.34:                               ;   in Loop: Header=BB1_23 Depth=2
	global_load_ushort v22, v[40:41], off offset:-96
	s_waitcnt vmcnt(0)
	v_bfi_b32 v27, s51, v22, v27
.LBB1_35:                               ;   in Loop: Header=BB1_23 Depth=2
	s_or_b64 exec, exec, s[40:41]
.LBB1_36:                               ;   in Loop: Header=BB1_23 Depth=2
	s_andn2_saveexec_b64 s[18:19], s[18:19]
	s_cbranch_execz .LBB1_38
; %bb.37:                               ;   in Loop: Header=BB1_23 Depth=2
	global_load_dwordx2 v[26:27], v[40:41], off offset:-100
.LBB1_38:                               ;   in Loop: Header=BB1_23 Depth=2
	s_or_b64 exec, exec, s[18:19]
.LBB1_39:                               ;   in Loop: Header=BB1_23 Depth=2
	s_or_b64 exec, exec, s[0:1]
	v_mov_b32_e32 v43, 0
	s_and_saveexec_b64 s[0:1], s[10:11]
	s_cbranch_execz .LBB1_51
; %bb.40:                               ;   in Loop: Header=BB1_23 Depth=2
	v_add_u32_e32 v22, 19, v37
	v_cmp_le_i32_e32 vcc, s22, v22
                                        ; implicit-def: $vgpr43
	s_and_saveexec_b64 s[18:19], vcc
	s_xor_b64 s[18:19], exec, s[18:19]
	s_cbranch_execz .LBB1_48
; %bb.41:                               ;   in Loop: Header=BB1_23 Depth=2
	v_add_u32_e32 v22, 16, v37
	v_cmp_gt_i32_e32 vcc, s22, v22
	v_mov_b32_e32 v43, 0
	v_mov_b32_e32 v42, 0
	s_and_saveexec_b64 s[40:41], vcc
	s_cbranch_execz .LBB1_43
; %bb.42:                               ;   in Loop: Header=BB1_23 Depth=2
	global_load_ushort v22, v[40:41], off offset:-68
	s_waitcnt vmcnt(0)
	v_and_b32_e32 v42, 0xffff, v22
.LBB1_43:                               ;   in Loop: Header=BB1_23 Depth=2
	s_or_b64 exec, exec, s[40:41]
	v_add_u32_e32 v22, 17, v37
	v_cmp_gt_i32_e32 vcc, s22, v22
	s_and_saveexec_b64 s[40:41], vcc
	s_cbranch_execz .LBB1_45
; %bb.44:                               ;   in Loop: Header=BB1_23 Depth=2
	global_load_ushort v22, v[40:41], off offset:-66
	s_waitcnt vmcnt(0)
	v_perm_b32 v42, v22, v42, s50
.LBB1_45:                               ;   in Loop: Header=BB1_23 Depth=2
	s_or_b64 exec, exec, s[40:41]
	v_add_u32_e32 v22, 18, v37
	v_cmp_gt_i32_e32 vcc, s22, v22
	s_and_saveexec_b64 s[40:41], vcc
	s_cbranch_execz .LBB1_47
; %bb.46:                               ;   in Loop: Header=BB1_23 Depth=2
	global_load_ushort v22, v[40:41], off offset:-64
	s_waitcnt vmcnt(0)
	v_bfi_b32 v43, s51, v22, v43
.LBB1_47:                               ;   in Loop: Header=BB1_23 Depth=2
	s_or_b64 exec, exec, s[40:41]
.LBB1_48:                               ;   in Loop: Header=BB1_23 Depth=2
	s_andn2_saveexec_b64 s[18:19], s[18:19]
	s_cbranch_execz .LBB1_50
; %bb.49:                               ;   in Loop: Header=BB1_23 Depth=2
	global_load_dwordx2 v[42:43], v[40:41], off offset:-68
.LBB1_50:                               ;   in Loop: Header=BB1_23 Depth=2
	s_or_b64 exec, exec, s[18:19]
.LBB1_51:                               ;   in Loop: Header=BB1_23 Depth=2
	s_or_b64 exec, exec, s[0:1]
	s_mulk_i32 s45, 0x2200
	v_add_u32_e32 v54, s45, v52
	ds_read_b64 v[22:23], v54
	ds_read_b64 v[24:25], v54 offset:2176
	ds_read_b64 v[28:29], v54 offset:4352
	;; [unrolled: 1-line block ×3, first 2 shown]
	v_mov_b32_e32 v44, 0
	s_waitcnt vmcnt(0) lgkmcnt(3)
	v_mfma_f32_16x16x16_bf16 v[18:21], v[26:27], v[22:23], v[18:21]
	v_mov_b32_e32 v46, 0
	v_mov_b32_e32 v47, 0
	s_waitcnt lgkmcnt(2)
	v_mfma_f32_16x16x16_bf16 v[14:17], v[26:27], v[24:25], v[14:17]
	s_waitcnt lgkmcnt(1)
	v_mfma_f32_16x16x16_bf16 v[22:25], v[26:27], v[28:29], v[10:13]
	;; [unrolled: 2-line block ×3, first 2 shown]
	s_and_saveexec_b64 s[0:1], s[10:11]
	s_cbranch_execz .LBB1_63
; %bb.52:                               ;   in Loop: Header=BB1_23 Depth=2
	s_nop 0
	v_add_u32_e32 v6, 35, v37
	v_cmp_le_i32_e32 vcc, s22, v6
                                        ; implicit-def: $vgpr47
	s_and_saveexec_b64 s[18:19], vcc
	s_xor_b64 s[18:19], exec, s[18:19]
	s_cbranch_execz .LBB1_60
; %bb.53:                               ;   in Loop: Header=BB1_23 Depth=2
	v_add_u32_e32 v6, 32, v37
	v_cmp_gt_i32_e32 vcc, s22, v6
	v_mov_b32_e32 v47, 0
	v_mov_b32_e32 v46, 0
	s_and_saveexec_b64 s[40:41], vcc
	s_cbranch_execz .LBB1_55
; %bb.54:                               ;   in Loop: Header=BB1_23 Depth=2
	global_load_ushort v6, v[40:41], off offset:-36
	s_waitcnt vmcnt(0)
	v_and_b32_e32 v46, 0xffff, v6
.LBB1_55:                               ;   in Loop: Header=BB1_23 Depth=2
	s_or_b64 exec, exec, s[40:41]
	v_add_u32_e32 v6, 33, v37
	v_cmp_gt_i32_e32 vcc, s22, v6
	s_and_saveexec_b64 s[40:41], vcc
	s_cbranch_execz .LBB1_57
; %bb.56:                               ;   in Loop: Header=BB1_23 Depth=2
	global_load_ushort v6, v[40:41], off offset:-34
	s_waitcnt vmcnt(0)
	v_perm_b32 v46, v6, v46, s50
.LBB1_57:                               ;   in Loop: Header=BB1_23 Depth=2
	s_or_b64 exec, exec, s[40:41]
	v_add_u32_e32 v6, 34, v37
	v_cmp_gt_i32_e32 vcc, s22, v6
	s_and_saveexec_b64 s[40:41], vcc
	s_cbranch_execz .LBB1_59
; %bb.58:                               ;   in Loop: Header=BB1_23 Depth=2
	global_load_ushort v6, v[40:41], off offset:-32
	s_waitcnt vmcnt(0)
	v_bfi_b32 v47, s51, v6, v47
.LBB1_59:                               ;   in Loop: Header=BB1_23 Depth=2
	s_or_b64 exec, exec, s[40:41]
.LBB1_60:                               ;   in Loop: Header=BB1_23 Depth=2
	s_andn2_saveexec_b64 s[18:19], s[18:19]
	s_cbranch_execz .LBB1_62
; %bb.61:                               ;   in Loop: Header=BB1_23 Depth=2
	global_load_dwordx2 v[46:47], v[40:41], off offset:-36
.LBB1_62:                               ;   in Loop: Header=BB1_23 Depth=2
	s_or_b64 exec, exec, s[18:19]
.LBB1_63:                               ;   in Loop: Header=BB1_23 Depth=2
	s_or_b64 exec, exec, s[0:1]
	ds_read_b64 v[6:7], v54 offset:32
	ds_read_b64 v[8:9], v54 offset:2208
	;; [unrolled: 1-line block ×4, first 2 shown]
	v_mov_b32_e32 v45, 0
	s_waitcnt lgkmcnt(3)
	v_mfma_f32_16x16x16_bf16 v[18:21], v[42:43], v[6:7], v[18:21]
	s_waitcnt lgkmcnt(2)
	v_mfma_f32_16x16x16_bf16 v[10:13], v[42:43], v[8:9], v[14:17]
	;; [unrolled: 2-line block ×4, first 2 shown]
	s_and_saveexec_b64 s[0:1], s[10:11]
	s_cbranch_execz .LBB1_22
; %bb.64:                               ;   in Loop: Header=BB1_23 Depth=2
	v_add_u32_e32 v22, 51, v37
	v_cmp_le_i32_e32 vcc, s22, v22
                                        ; implicit-def: $vgpr45
	s_and_saveexec_b64 s[18:19], vcc
	s_xor_b64 s[18:19], exec, s[18:19]
	s_cbranch_execz .LBB1_72
; %bb.65:                               ;   in Loop: Header=BB1_23 Depth=2
	v_add_u32_e32 v22, 48, v37
	v_cmp_gt_i32_e32 vcc, s22, v22
	v_mov_b32_e32 v45, 0
	v_mov_b32_e32 v44, 0
	s_and_saveexec_b64 s[40:41], vcc
	s_cbranch_execz .LBB1_67
; %bb.66:                               ;   in Loop: Header=BB1_23 Depth=2
	global_load_ushort v22, v[40:41], off offset:-4
	s_waitcnt vmcnt(0)
	v_and_b32_e32 v44, 0xffff, v22
.LBB1_67:                               ;   in Loop: Header=BB1_23 Depth=2
	s_or_b64 exec, exec, s[40:41]
	v_add_u32_e32 v22, 49, v37
	v_cmp_gt_i32_e32 vcc, s22, v22
	s_and_saveexec_b64 s[40:41], vcc
	s_cbranch_execz .LBB1_69
; %bb.68:                               ;   in Loop: Header=BB1_23 Depth=2
	global_load_ushort v22, v[40:41], off offset:-2
	s_waitcnt vmcnt(0)
	v_perm_b32 v44, v22, v44, s50
.LBB1_69:                               ;   in Loop: Header=BB1_23 Depth=2
	s_or_b64 exec, exec, s[40:41]
	v_add_u32_e32 v22, 50, v37
	v_cmp_gt_i32_e32 vcc, s22, v22
	s_and_saveexec_b64 s[40:41], vcc
	s_cbranch_execz .LBB1_71
; %bb.70:                               ;   in Loop: Header=BB1_23 Depth=2
	global_load_ushort v22, v[40:41], off
	s_waitcnt vmcnt(0)
	v_bfi_b32 v45, s51, v22, v45
.LBB1_71:                               ;   in Loop: Header=BB1_23 Depth=2
	s_or_b64 exec, exec, s[40:41]
.LBB1_72:                               ;   in Loop: Header=BB1_23 Depth=2
	s_andn2_saveexec_b64 s[18:19], s[18:19]
	s_cbranch_execz .LBB1_21
; %bb.73:                               ;   in Loop: Header=BB1_23 Depth=2
	global_load_dwordx2 v[44:45], v[40:41], off offset:-4
	s_branch .LBB1_21
.LBB1_74:                               ;   in Loop: Header=BB1_17 Depth=1
	v_or_b32_e32 v46, s42, v49
	v_cmp_gt_i32_e32 vcc, s35, v46
	s_waitcnt vmcnt(0)
	v_mov_b32_e32 v24, 0
	v_mov_b64_e32 v[22:23], 0
	v_mov_b64_e32 v[38:39], 0
	v_mov_b32_e32 v40, 0
	s_and_saveexec_b64 s[0:1], vcc
	s_cbranch_execz .LBB1_76
; %bb.75:                               ;   in Loop: Header=BB1_17 Depth=1
	v_ashrrev_i32_e32 v47, 31, v46
	v_lshlrev_b64 v[26:27], 2, v[46:47]
	v_lshl_add_u64 v[28:29], s[26:27], 0, v[26:27]
	global_load_dword v25, v[28:29], off
	v_lshl_add_u64 v[26:27], s[28:29], 0, v[26:27]
	global_load_dword v40, v[26:27], off
	s_waitcnt vmcnt(1)
	v_mad_i64_i32 v[26:27], s[14:15], v25, s23, 0
	v_lshl_add_u64 v[38:39], v[26:27], 2, s[30:31]
.LBB1_76:                               ;   in Loop: Header=BB1_17 Depth=1
	s_or_b64 exec, exec, s[0:1]
	v_or_b32_e32 v25, 16, v46
	v_cmp_gt_i32_e32 vcc, s35, v25
	s_and_saveexec_b64 s[0:1], vcc
	s_cbranch_execz .LBB1_78
; %bb.77:                               ;   in Loop: Header=BB1_17 Depth=1
	v_ashrrev_i32_e32 v47, 31, v46
	v_lshlrev_b64 v[22:23], 2, v[46:47]
	v_lshl_add_u64 v[24:25], s[26:27], 0, v[22:23]
	global_load_dword v25, v[24:25], off offset:64
	v_lshl_add_u64 v[22:23], s[28:29], 0, v[22:23]
	global_load_dword v24, v[22:23], off offset:64
	s_waitcnt vmcnt(1)
	v_mad_i64_i32 v[22:23], s[14:15], v25, s23, 0
	v_lshl_add_u64 v[22:23], v[22:23], 2, s[30:31]
.LBB1_78:                               ;   in Loop: Header=BB1_17 Depth=1
	s_or_b64 exec, exec, s[0:1]
	v_or_b32_e32 v25, 32, v46
	v_cmp_gt_i32_e32 vcc, s35, v25
	v_mov_b32_e32 v28, 0
	v_mov_b64_e32 v[26:27], 0
	v_mov_b64_e32 v[42:43], 0
	v_mov_b32_e32 v44, 0
	s_and_saveexec_b64 s[0:1], vcc
	s_cbranch_execz .LBB1_80
; %bb.79:                               ;   in Loop: Header=BB1_17 Depth=1
	v_ashrrev_i32_e32 v47, 31, v46
	v_lshlrev_b64 v[42:43], 2, v[46:47]
	v_lshl_add_u64 v[44:45], s[26:27], 0, v[42:43]
	global_load_dword v25, v[44:45], off offset:128
	v_lshl_add_u64 v[42:43], s[28:29], 0, v[42:43]
	global_load_dword v44, v[42:43], off offset:128
	s_waitcnt vmcnt(1)
	v_mad_i64_i32 v[42:43], s[14:15], v25, s23, 0
	v_lshl_add_u64 v[42:43], v[42:43], 2, s[30:31]
.LBB1_80:                               ;   in Loop: Header=BB1_17 Depth=1
	s_or_b64 exec, exec, s[0:1]
	v_or_b32_e32 v25, 48, v46
	v_cmp_gt_i32_e32 vcc, s35, v25
	s_and_saveexec_b64 s[0:1], vcc
	s_cbranch_execz .LBB1_82
; %bb.81:                               ;   in Loop: Header=BB1_17 Depth=1
	v_ashrrev_i32_e32 v47, 31, v46
	v_lshlrev_b64 v[26:27], 2, v[46:47]
	v_lshl_add_u64 v[28:29], s[26:27], 0, v[26:27]
	global_load_dword v25, v[28:29], off offset:192
	v_lshl_add_u64 v[26:27], s[28:29], 0, v[26:27]
	global_load_dword v28, v[26:27], off offset:192
	s_waitcnt vmcnt(1)
	v_mad_i64_i32 v[26:27], s[14:15], v25, s23, 0
	v_lshl_add_u64 v[26:27], v[26:27], 2, s[30:31]
.LBB1_82:                               ;   in Loop: Header=BB1_17 Depth=1
	s_or_b64 exec, exec, s[0:1]
	v_cmp_ne_u64_e32 vcc, 0, v[38:39]
	s_and_saveexec_b64 s[0:1], s[6:7]
	s_xor_b64 s[40:41], exec, s[0:1]
	s_cbranch_execz .LBB1_102
; %bb.83:                               ;   in Loop: Header=BB1_17 Depth=1
	v_cmp_ne_u64_e64 s[18:19], 0, v[22:23]
	v_cmp_ne_u64_e64 s[14:15], 0, v[42:43]
	;; [unrolled: 1-line block ×3, first 2 shown]
	s_and_saveexec_b64 s[42:43], s[16:17]
	s_cbranch_execz .LBB1_89
; %bb.84:                               ;   in Loop: Header=BB1_17 Depth=1
	s_and_saveexec_b64 s[44:45], vcc
	s_cbranch_execnz .LBB1_111
; %bb.85:                               ;   in Loop: Header=BB1_17 Depth=1
	s_or_b64 exec, exec, s[44:45]
	s_and_saveexec_b64 s[44:45], s[18:19]
	s_cbranch_execnz .LBB1_112
.LBB1_86:                               ;   in Loop: Header=BB1_17 Depth=1
	s_or_b64 exec, exec, s[44:45]
	s_and_saveexec_b64 s[44:45], s[14:15]
	s_cbranch_execnz .LBB1_113
.LBB1_87:                               ;   in Loop: Header=BB1_17 Depth=1
	s_or_b64 exec, exec, s[44:45]
	s_and_b64 exec, exec, s[0:1]
	s_cbranch_execz .LBB1_89
.LBB1_88:                               ;   in Loop: Header=BB1_17 Depth=1
	s_waitcnt vmcnt(0)
	v_mul_f32_e32 v6, v28, v6
	v_lshl_add_u64 v[46:47], v[30:31], 2, v[26:27]
	global_atomic_add_f32 v[46:47], v6, off
.LBB1_89:                               ;   in Loop: Header=BB1_17 Depth=1
	s_or_b64 exec, exec, s[42:43]
	s_and_saveexec_b64 s[42:43], s[20:21]
	s_cbranch_execz .LBB1_95
; %bb.90:                               ;   in Loop: Header=BB1_17 Depth=1
	s_and_saveexec_b64 s[44:45], vcc
	s_cbranch_execnz .LBB1_114
; %bb.91:                               ;   in Loop: Header=BB1_17 Depth=1
	s_or_b64 exec, exec, s[44:45]
	s_and_saveexec_b64 s[44:45], s[18:19]
	s_cbranch_execnz .LBB1_115
.LBB1_92:                               ;   in Loop: Header=BB1_17 Depth=1
	s_or_b64 exec, exec, s[44:45]
	s_and_saveexec_b64 s[44:45], s[14:15]
	s_cbranch_execnz .LBB1_116
.LBB1_93:                               ;   in Loop: Header=BB1_17 Depth=1
	s_or_b64 exec, exec, s[44:45]
	s_and_b64 exec, exec, s[0:1]
	s_cbranch_execz .LBB1_95
.LBB1_94:                               ;   in Loop: Header=BB1_17 Depth=1
	s_waitcnt vmcnt(0)
	v_mul_f32_e32 v9, v28, v7
	v_lshl_add_u64 v[6:7], v[30:31], 2, v[26:27]
	global_atomic_add_f32 v[6:7], v9, off offset:4
.LBB1_95:                               ;   in Loop: Header=BB1_17 Depth=1
	s_or_b64 exec, exec, s[42:43]
	s_and_saveexec_b64 s[42:43], s[4:5]
	s_cbranch_execz .LBB1_101
; %bb.96:                               ;   in Loop: Header=BB1_17 Depth=1
	s_and_saveexec_b64 s[44:45], vcc
	s_cbranch_execnz .LBB1_117
; %bb.97:                               ;   in Loop: Header=BB1_17 Depth=1
	s_or_b64 exec, exec, s[44:45]
	s_and_saveexec_b64 s[44:45], s[18:19]
	s_cbranch_execnz .LBB1_118
.LBB1_98:                               ;   in Loop: Header=BB1_17 Depth=1
	s_or_b64 exec, exec, s[44:45]
	s_and_saveexec_b64 s[18:19], s[14:15]
	s_cbranch_execnz .LBB1_119
.LBB1_99:                               ;   in Loop: Header=BB1_17 Depth=1
	s_or_b64 exec, exec, s[18:19]
	s_and_b64 exec, exec, s[0:1]
	s_cbranch_execz .LBB1_101
.LBB1_100:                              ;   in Loop: Header=BB1_17 Depth=1
	s_waitcnt vmcnt(0)
	v_mul_f32_e32 v8, v28, v8
	v_lshl_add_u64 v[6:7], v[30:31], 2, v[26:27]
	global_atomic_add_f32 v[6:7], v8, off offset:8
.LBB1_101:                              ;   in Loop: Header=BB1_17 Depth=1
	s_or_b64 exec, exec, s[42:43]
                                        ; implicit-def: $vgpr18_vgpr19_vgpr20_vgpr21
                                        ; implicit-def: $vgpr14_vgpr15_vgpr16_vgpr17
                                        ; implicit-def: $vgpr10_vgpr11_vgpr12_vgpr13
                                        ; implicit-def: $vgpr6_vgpr7_vgpr8_vgpr9
                                        ; implicit-def: $vgpr38_vgpr39
                                        ; implicit-def: $vgpr40
                                        ; implicit-def: $vgpr22_vgpr23
                                        ; implicit-def: $vgpr24
                                        ; implicit-def: $vgpr42_vgpr43
                                        ; implicit-def: $vgpr44
                                        ; implicit-def: $vgpr26_vgpr27
                                        ; implicit-def: $vgpr28
.LBB1_102:                              ;   in Loop: Header=BB1_17 Depth=1
	s_andn2_saveexec_b64 s[0:1], s[40:41]
	s_cbranch_execz .LBB1_16
; %bb.103:                              ;   in Loop: Header=BB1_17 Depth=1
	s_and_saveexec_b64 s[14:15], vcc
	s_cbranch_execnz .LBB1_107
; %bb.104:                              ;   in Loop: Header=BB1_17 Depth=1
	s_or_b64 exec, exec, s[14:15]
	v_cmp_ne_u64_e32 vcc, 0, v[22:23]
	s_and_saveexec_b64 s[14:15], vcc
	s_cbranch_execnz .LBB1_108
.LBB1_105:                              ;   in Loop: Header=BB1_17 Depth=1
	s_or_b64 exec, exec, s[14:15]
	v_cmp_ne_u64_e32 vcc, 0, v[42:43]
	s_and_saveexec_b64 s[14:15], vcc
	s_cbranch_execnz .LBB1_109
.LBB1_106:                              ;   in Loop: Header=BB1_17 Depth=1
	s_or_b64 exec, exec, s[14:15]
	v_cmp_ne_u64_e32 vcc, 0, v[26:27]
	s_and_saveexec_b64 s[14:15], vcc
	s_cbranch_execz .LBB1_15
	s_branch .LBB1_110
.LBB1_107:                              ;   in Loop: Header=BB1_17 Depth=1
	s_waitcnt vmcnt(0)
	v_pk_mul_f32 v[18:19], v[18:19], v[40:41] op_sel_hi:[1,0]
	v_lshl_add_u64 v[38:39], v[30:31], 2, v[38:39]
	v_pk_mul_f32 v[20:21], v[20:21], v[40:41] op_sel_hi:[1,0]
	global_atomic_add_f32 v[38:39], v18, off
	global_atomic_add_f32 v[38:39], v19, off offset:4
	global_atomic_add_f32 v[38:39], v20, off offset:8
	;; [unrolled: 1-line block ×3, first 2 shown]
	s_or_b64 exec, exec, s[14:15]
	v_cmp_ne_u64_e32 vcc, 0, v[22:23]
	s_and_saveexec_b64 s[14:15], vcc
	s_cbranch_execz .LBB1_105
.LBB1_108:                              ;   in Loop: Header=BB1_17 Depth=1
	s_waitcnt vmcnt(0)
	v_pk_mul_f32 v[14:15], v[14:15], v[24:25] op_sel_hi:[1,0]
	v_lshl_add_u64 v[18:19], v[30:31], 2, v[22:23]
	v_pk_mul_f32 v[16:17], v[16:17], v[24:25] op_sel_hi:[1,0]
	global_atomic_add_f32 v[18:19], v14, off
	global_atomic_add_f32 v[18:19], v15, off offset:4
	global_atomic_add_f32 v[18:19], v16, off offset:8
	;; [unrolled: 1-line block ×3, first 2 shown]
	s_or_b64 exec, exec, s[14:15]
	v_cmp_ne_u64_e32 vcc, 0, v[42:43]
	s_and_saveexec_b64 s[14:15], vcc
	s_cbranch_execz .LBB1_106
.LBB1_109:                              ;   in Loop: Header=BB1_17 Depth=1
	s_waitcnt vmcnt(0)
	v_pk_mul_f32 v[10:11], v[10:11], v[44:45] op_sel_hi:[1,0]
	v_lshl_add_u64 v[14:15], v[30:31], 2, v[42:43]
	v_pk_mul_f32 v[12:13], v[12:13], v[44:45] op_sel_hi:[1,0]
	global_atomic_add_f32 v[14:15], v10, off
	global_atomic_add_f32 v[14:15], v11, off offset:4
	global_atomic_add_f32 v[14:15], v12, off offset:8
	;; [unrolled: 1-line block ×3, first 2 shown]
	s_or_b64 exec, exec, s[14:15]
	v_cmp_ne_u64_e32 vcc, 0, v[26:27]
	s_and_saveexec_b64 s[14:15], vcc
	s_cbranch_execz .LBB1_15
.LBB1_110:                              ;   in Loop: Header=BB1_17 Depth=1
	s_waitcnt vmcnt(0)
	v_pk_mul_f32 v[6:7], v[6:7], v[28:29] op_sel_hi:[1,0]
	v_lshl_add_u64 v[10:11], v[30:31], 2, v[26:27]
	v_pk_mul_f32 v[8:9], v[8:9], v[28:29] op_sel_hi:[1,0]
	global_atomic_add_f32 v[10:11], v6, off
	global_atomic_add_f32 v[10:11], v7, off offset:4
	global_atomic_add_f32 v[10:11], v8, off offset:8
	;; [unrolled: 1-line block ×3, first 2 shown]
	s_branch .LBB1_15
.LBB1_111:                              ;   in Loop: Header=BB1_17 Depth=1
	s_waitcnt vmcnt(0)
	v_mul_f32_e32 v9, v40, v18
	v_lshl_add_u64 v[46:47], v[30:31], 2, v[38:39]
	global_atomic_add_f32 v[46:47], v9, off
	s_or_b64 exec, exec, s[44:45]
	s_and_saveexec_b64 s[44:45], s[18:19]
	s_cbranch_execz .LBB1_86
.LBB1_112:                              ;   in Loop: Header=BB1_17 Depth=1
	s_waitcnt vmcnt(0)
	v_mul_f32_e32 v9, v24, v14
	v_lshl_add_u64 v[46:47], v[30:31], 2, v[22:23]
	global_atomic_add_f32 v[46:47], v9, off
	s_or_b64 exec, exec, s[44:45]
	s_and_saveexec_b64 s[44:45], s[14:15]
	s_cbranch_execz .LBB1_87
.LBB1_113:                              ;   in Loop: Header=BB1_17 Depth=1
	s_waitcnt vmcnt(0)
	v_mul_f32_e32 v9, v44, v10
	v_lshl_add_u64 v[46:47], v[30:31], 2, v[42:43]
	global_atomic_add_f32 v[46:47], v9, off
	s_or_b64 exec, exec, s[44:45]
	s_and_b64 exec, exec, s[0:1]
	s_cbranch_execnz .LBB1_88
	s_branch .LBB1_89
.LBB1_114:                              ;   in Loop: Header=BB1_17 Depth=1
	s_waitcnt vmcnt(0)
	v_mul_f32_e32 v6, v40, v19
	v_lshl_add_u64 v[18:19], v[30:31], 2, v[38:39]
	global_atomic_add_f32 v[18:19], v6, off offset:4
	s_or_b64 exec, exec, s[44:45]
	s_and_saveexec_b64 s[44:45], s[18:19]
	s_cbranch_execz .LBB1_92
.LBB1_115:                              ;   in Loop: Header=BB1_17 Depth=1
	s_waitcnt vmcnt(0)
	v_mul_f32_e32 v6, v24, v15
	v_lshl_add_u64 v[14:15], v[30:31], 2, v[22:23]
	global_atomic_add_f32 v[14:15], v6, off offset:4
	s_or_b64 exec, exec, s[44:45]
	s_and_saveexec_b64 s[44:45], s[14:15]
	s_cbranch_execz .LBB1_93
.LBB1_116:                              ;   in Loop: Header=BB1_17 Depth=1
	s_waitcnt vmcnt(0)
	v_mul_f32_e32 v6, v44, v11
	v_lshl_add_u64 v[10:11], v[30:31], 2, v[42:43]
	global_atomic_add_f32 v[10:11], v6, off offset:4
	s_or_b64 exec, exec, s[44:45]
	s_and_b64 exec, exec, s[0:1]
	s_cbranch_execnz .LBB1_94
	s_branch .LBB1_95
.LBB1_117:                              ;   in Loop: Header=BB1_17 Depth=1
	s_waitcnt vmcnt(0)
	v_mul_f32_e32 v9, v40, v20
	v_lshl_add_u64 v[6:7], v[30:31], 2, v[38:39]
	global_atomic_add_f32 v[6:7], v9, off offset:8
	s_or_b64 exec, exec, s[44:45]
	s_and_saveexec_b64 s[44:45], s[18:19]
	s_cbranch_execz .LBB1_98
.LBB1_118:                              ;   in Loop: Header=BB1_17 Depth=1
	s_waitcnt vmcnt(0)
	v_mul_f32_e32 v9, v24, v16
	v_lshl_add_u64 v[6:7], v[30:31], 2, v[22:23]
	global_atomic_add_f32 v[6:7], v9, off offset:8
	s_or_b64 exec, exec, s[44:45]
	s_and_saveexec_b64 s[18:19], s[14:15]
	s_cbranch_execz .LBB1_99
.LBB1_119:                              ;   in Loop: Header=BB1_17 Depth=1
	s_waitcnt vmcnt(0)
	v_mul_f32_e32 v9, v44, v12
	v_lshl_add_u64 v[6:7], v[30:31], 2, v[42:43]
	global_atomic_add_f32 v[6:7], v9, off offset:8
	s_or_b64 exec, exec, s[18:19]
	s_and_b64 exec, exec, s[0:1]
	s_cbranch_execnz .LBB1_100
	s_branch .LBB1_101
.LBB1_120:
	s_endpgm
	.section	.rodata,"a",@progbits
	.p2align	6, 0x0
	.amdhsa_kernel _Z28moe_mlp2_scatter_mfma_kernelPKiiiPKfS0_S2_PfPK14__hip_bfloat16S6_iixx
		.amdhsa_group_segment_fixed_size 17408
		.amdhsa_private_segment_fixed_size 0
		.amdhsa_kernarg_size 344
		.amdhsa_user_sgpr_count 2
		.amdhsa_user_sgpr_dispatch_ptr 0
		.amdhsa_user_sgpr_queue_ptr 0
		.amdhsa_user_sgpr_kernarg_segment_ptr 1
		.amdhsa_user_sgpr_dispatch_id 0
		.amdhsa_user_sgpr_kernarg_preload_length 0
		.amdhsa_user_sgpr_kernarg_preload_offset 0
		.amdhsa_user_sgpr_private_segment_size 0
		.amdhsa_uses_dynamic_stack 0
		.amdhsa_enable_private_segment 0
		.amdhsa_system_sgpr_workgroup_id_x 1
		.amdhsa_system_sgpr_workgroup_id_y 1
		.amdhsa_system_sgpr_workgroup_id_z 1
		.amdhsa_system_sgpr_workgroup_info 0
		.amdhsa_system_vgpr_workitem_id 0
		.amdhsa_next_free_vgpr 64
		.amdhsa_next_free_sgpr 52
		.amdhsa_accum_offset 64
		.amdhsa_reserve_vcc 1
		.amdhsa_float_round_mode_32 0
		.amdhsa_float_round_mode_16_64 0
		.amdhsa_float_denorm_mode_32 3
		.amdhsa_float_denorm_mode_16_64 3
		.amdhsa_dx10_clamp 1
		.amdhsa_ieee_mode 1
		.amdhsa_fp16_overflow 0
		.amdhsa_tg_split 0
		.amdhsa_exception_fp_ieee_invalid_op 0
		.amdhsa_exception_fp_denorm_src 0
		.amdhsa_exception_fp_ieee_div_zero 0
		.amdhsa_exception_fp_ieee_overflow 0
		.amdhsa_exception_fp_ieee_underflow 0
		.amdhsa_exception_fp_ieee_inexact 0
		.amdhsa_exception_int_div_zero 0
	.end_amdhsa_kernel
	.text
.Lfunc_end1:
	.size	_Z28moe_mlp2_scatter_mfma_kernelPKiiiPKfS0_S2_PfPK14__hip_bfloat16S6_iixx, .Lfunc_end1-_Z28moe_mlp2_scatter_mfma_kernelPKiiiPKfS0_S2_PfPK14__hip_bfloat16S6_iixx
                                        ; -- End function
	.set _Z28moe_mlp2_scatter_mfma_kernelPKiiiPKfS0_S2_PfPK14__hip_bfloat16S6_iixx.num_vgpr, 64
	.set _Z28moe_mlp2_scatter_mfma_kernelPKiiiPKfS0_S2_PfPK14__hip_bfloat16S6_iixx.num_agpr, 0
	.set _Z28moe_mlp2_scatter_mfma_kernelPKiiiPKfS0_S2_PfPK14__hip_bfloat16S6_iixx.numbered_sgpr, 52
	.set _Z28moe_mlp2_scatter_mfma_kernelPKiiiPKfS0_S2_PfPK14__hip_bfloat16S6_iixx.num_named_barrier, 0
	.set _Z28moe_mlp2_scatter_mfma_kernelPKiiiPKfS0_S2_PfPK14__hip_bfloat16S6_iixx.private_seg_size, 0
	.set _Z28moe_mlp2_scatter_mfma_kernelPKiiiPKfS0_S2_PfPK14__hip_bfloat16S6_iixx.uses_vcc, 1
	.set _Z28moe_mlp2_scatter_mfma_kernelPKiiiPKfS0_S2_PfPK14__hip_bfloat16S6_iixx.uses_flat_scratch, 0
	.set _Z28moe_mlp2_scatter_mfma_kernelPKiiiPKfS0_S2_PfPK14__hip_bfloat16S6_iixx.has_dyn_sized_stack, 0
	.set _Z28moe_mlp2_scatter_mfma_kernelPKiiiPKfS0_S2_PfPK14__hip_bfloat16S6_iixx.has_recursion, 0
	.set _Z28moe_mlp2_scatter_mfma_kernelPKiiiPKfS0_S2_PfPK14__hip_bfloat16S6_iixx.has_indirect_call, 0
	.section	.AMDGPU.csdata,"",@progbits
; Kernel info:
; codeLenInByte = 3824
; TotalNumSgprs: 58
; NumVgprs: 64
; NumAgprs: 0
; TotalNumVgprs: 64
; ScratchSize: 0
; MemoryBound: 0
; FloatMode: 240
; IeeeMode: 1
; LDSByteSize: 17408 bytes/workgroup (compile time only)
; SGPRBlocks: 7
; VGPRBlocks: 7
; NumSGPRsForWavesPerEU: 58
; NumVGPRsForWavesPerEU: 64
; AccumOffset: 64
; Occupancy: 8
; WaveLimiterHint : 1
; COMPUTE_PGM_RSRC2:SCRATCH_EN: 0
; COMPUTE_PGM_RSRC2:USER_SGPR: 2
; COMPUTE_PGM_RSRC2:TRAP_HANDLER: 0
; COMPUTE_PGM_RSRC2:TGID_X_EN: 1
; COMPUTE_PGM_RSRC2:TGID_Y_EN: 1
; COMPUTE_PGM_RSRC2:TGID_Z_EN: 1
; COMPUTE_PGM_RSRC2:TIDIG_COMP_CNT: 0
; COMPUTE_PGM_RSRC3_GFX90A:ACCUM_OFFSET: 15
; COMPUTE_PGM_RSRC3_GFX90A:TG_SPLIT: 0
	.text
	.protected	_Z26moe_mlp2_store_mfma_kernelPKiiiPKfS2_PfPK14__hip_bfloat16S6_iixx ; -- Begin function _Z26moe_mlp2_store_mfma_kernelPKiiiPKfS2_PfPK14__hip_bfloat16S6_iixx
	.globl	_Z26moe_mlp2_store_mfma_kernelPKiiiPKfS2_PfPK14__hip_bfloat16S6_iixx
	.p2align	8
	.type	_Z26moe_mlp2_store_mfma_kernelPKiiiPKfS2_PfPK14__hip_bfloat16S6_iixx,@function
_Z26moe_mlp2_store_mfma_kernelPKiiiPKfS2_PfPK14__hip_bfloat16S6_iixx: ; @_Z26moe_mlp2_store_mfma_kernelPKiiiPKfS2_PfPK14__hip_bfloat16S6_iixx
; %bb.0:
	s_load_dwordx2 s[6:7], s[0:1], 0x8
	s_waitcnt lgkmcnt(0)
	s_cmp_ge_i32 s4, s7
	s_cbranch_scc1 .LBB2_120
; %bb.1:
	s_load_dwordx2 s[8:9], s[0:1], 0x0
	s_load_dwordx2 s[22:23], s[0:1], 0x38
	s_add_i32 s4, s6, s4
	s_mul_i32 s4, s4, 3
	s_ashr_i32 s5, s4, 31
	s_lshl_b64 s[4:5], s[4:5], 2
	s_waitcnt lgkmcnt(0)
	s_add_u32 s6, s8, s4
	s_addc_u32 s7, s9, s5
	s_load_dwordx2 s[34:35], s[6:7], 0x4
	s_cmp_eq_u32 s23, 0
	s_cselect_b64 s[4:5], -1, 0
	s_waitcnt lgkmcnt(0)
	s_cmp_eq_u32 s35, 0
	s_cselect_b64 s[8:9], -1, 0
	s_or_b64 s[4:5], s[4:5], s[8:9]
	s_cmp_eq_u32 s22, 0
	s_cselect_b64 s[8:9], -1, 0
	s_or_b64 s[4:5], s[8:9], s[4:5]
	s_and_b64 vcc, exec, s[4:5]
	s_cbranch_vccnz .LBB2_120
; %bb.2:
	s_load_dword s18, s[6:7], 0x0
	s_load_dwordx2 s[4:5], s[0:1], 0x30
	s_load_dwordx4 s[12:15], s[0:1], 0x40
	s_mov_b64 s[8:9], 0
	s_waitcnt lgkmcnt(0)
	s_ashr_i32 s19, s18, 31
	s_cmp_eq_u64 s[4:5], 0
	s_cbranch_scc1 .LBB2_4
; %bb.3:
	s_mul_i32 s6, s14, s19
	s_mul_hi_u32 s7, s14, s18
	s_add_i32 s6, s7, s6
	s_mul_i32 s7, s15, s18
	s_add_i32 s7, s6, s7
	s_mul_i32 s6, s14, s18
	s_lshl_b64 s[6:7], s[6:7], 1
	s_add_u32 s8, s4, s6
	s_addc_u32 s9, s5, s7
.LBB2_4:
	s_lshl_b32 s14, s3, 8
	s_cmp_lt_i32 s14, s23
	s_cselect_b64 s[4:5], -1, 0
	s_lshl_b32 s15, s2, 6
	s_cmp_lt_i32 s15, s35
	s_cselect_b64 s[6:7], -1, 0
	s_and_b64 s[4:5], s[4:5], s[6:7]
	s_andn2_b64 vcc, exec, s[4:5]
	s_cbranch_vccnz .LBB2_120
; %bb.5:
	v_lshrrev_b32_e32 v2, 2, v0
	v_and_b32_e32 v1, 0xf0, v2
	v_or_b32_e32 v6, s14, v1
	v_and_b32_e32 v48, 12, v2
	v_or_b32_e32 v26, v6, v48
	s_cmp_lg_u64 s[8:9], 0
	s_cselect_b64 s[10:11], -1, 0
	v_cmp_gt_i32_e64 s[16:17], s23, v26
	v_mov_b32_e32 v2, 0
	s_and_b64 s[6:7], s[10:11], s[16:17]
	v_mov_b32_e32 v3, v2
	v_mov_b32_e32 v4, v2
	;; [unrolled: 1-line block ×3, first 2 shown]
	s_and_saveexec_b64 s[4:5], s[6:7]
	s_cbranch_execz .LBB2_7
; %bb.6:
	v_ashrrev_i32_e32 v27, 31, v26
	v_lshl_add_u64 v[4:5], v[26:27], 1, s[8:9]
	global_load_ushort v3, v[4:5], off
	v_mov_b32_e32 v9, v2
	v_mov_b32_e32 v10, v2
	v_mov_b32_e32 v11, v2
	s_waitcnt vmcnt(0)
	v_lshlrev_b32_e32 v8, 16, v3
	v_mov_b64_e32 v[2:3], v[8:9]
	v_mov_b64_e32 v[4:5], v[10:11]
.LBB2_7:
	s_or_b64 exec, exec, s[4:5]
	v_or_b32_e32 v7, 1, v26
	v_cmp_gt_i32_e64 s[20:21], s23, v7
	s_and_b64 s[6:7], s[10:11], s[20:21]
	s_and_saveexec_b64 s[4:5], s[6:7]
	s_cbranch_execz .LBB2_9
; %bb.8:
	v_ashrrev_i32_e32 v27, 31, v26
	v_lshl_add_u64 v[8:9], v[26:27], 1, s[8:9]
	global_load_ushort v3, v[8:9], off offset:2
	s_waitcnt vmcnt(0)
	v_lshlrev_b32_e32 v3, 16, v3
.LBB2_9:
	s_or_b64 exec, exec, s[4:5]
	v_or_b32_e32 v7, 2, v26
	v_cmp_gt_i32_e64 s[4:5], s23, v7
	s_and_b64 s[24:25], s[10:11], s[4:5]
	s_and_saveexec_b64 s[6:7], s[24:25]
	s_cbranch_execz .LBB2_11
; %bb.10:
	v_ashrrev_i32_e32 v27, 31, v26
	v_lshl_add_u64 v[8:9], v[26:27], 1, s[8:9]
	global_load_ushort v4, v[8:9], off offset:4
	s_waitcnt vmcnt(0)
	v_lshlrev_b32_e32 v4, 16, v4
.LBB2_11:
	s_or_b64 exec, exec, s[6:7]
	v_or_b32_e32 v7, 3, v26
	v_cmp_gt_i32_e32 vcc, s23, v7
	v_cmp_le_i32_e64 s[6:7], s23, v7
	s_and_b64 s[24:25], s[10:11], vcc
	s_and_saveexec_b64 s[10:11], s[24:25]
	s_cbranch_execz .LBB2_13
; %bb.12:
	v_ashrrev_i32_e32 v27, 31, v26
	v_lshl_add_u64 v[8:9], v[26:27], 1, s[8:9]
	global_load_ushort v5, v[8:9], off offset:6
	s_waitcnt vmcnt(0)
	v_lshlrev_b32_e32 v5, 16, v5
.LBB2_13:
	s_or_b64 exec, exec, s[10:11]
	s_add_i32 s3, s35, 63
	s_ashr_i32 s8, s3, 31
	s_lshr_b32 s8, s8, 26
	s_add_i32 s3, s3, s8
	s_ashr_i32 s3, s3, 6
	s_cmp_lt_u32 s35, 0xffffff82
	s_cselect_b64 s[8:9], -1, 0
	s_cmp_lt_i32 s2, s3
	s_cselect_b64 s[10:11], -1, 0
	s_and_b64 s[8:9], s[8:9], s[10:11]
	s_and_b64 vcc, exec, s[8:9]
	s_cbranch_vccz .LBB2_120
; %bb.14:
	s_load_dwordx8 s[24:31], s[0:1], 0x10
	s_add_i32 s8, s22, 63
	s_ashr_i32 s9, s8, 31
	s_lshr_b32 s9, s9, 26
	s_add_i32 s8, s8, s9
	s_mul_hi_i32 s11, s34, s22
	s_mul_i32 s10, s34, s22
	s_ashr_i32 s33, s8, 6
	s_ashr_i32 s9, s34, 31
	;; [unrolled: 1-line block ×3, first 2 shown]
	s_lshl_b64 s[10:11], s[10:11], 2
	s_mov_b32 s8, s34
	s_waitcnt lgkmcnt(0)
	s_add_u32 s10, s24, s10
	s_addc_u32 s11, s25, s11
	s_lshl_b64 s[36:37], s[8:9], 2
	s_add_u32 s26, s26, s36
	s_mul_hi_i32 s9, s34, s23
	s_mul_i32 s8, s34, s23
	s_addc_u32 s27, s27, s37
	s_lshl_b64 s[8:9], s[8:9], 2
	s_add_u32 s28, s28, s8
	v_lshlrev_b32_e32 v7, 2, v0
	v_and_b32_e32 v49, 15, v0
	s_addc_u32 s29, s29, s9
	v_and_b32_e32 v10, 60, v7
	v_lshlrev_b32_e32 v8, 2, v10
	v_mov_b32_e32 v9, 0
	s_cmp_gt_i32 s22, 0
	v_or_b32_e32 v6, v6, v49
	s_mov_b32 s46, s23
	v_lshrrev_b32_e32 v50, 4, v0
	v_lshl_add_u64 v[28:29], s[10:11], 0, v[8:9]
	v_lshlrev_b32_e32 v7, 1, v10
	s_movk_i32 s34, 0x88
	s_cselect_b64 s[38:39], -1, 0
	v_cmp_gt_i32_e64 s[10:11], s23, v6
	s_load_dword s23, s[0:1], 0x50
	s_max_i32 s0, s33, 1
	v_lshlrev_b32_e32 v6, 1, v48
	v_mad_u32_u24 v51, v50, s34, v7
	v_mad_u32_u24 v52, v49, s34, v6
	s_lshl_b32 s34, s0, 6
	v_lshlrev_b32_e32 v8, 4, v49
	s_mul_i32 s0, s12, s19
	s_mul_hi_u32 s1, s12, s18
	v_lshl_add_u64 v[6:7], s[24:25], 0, v[8:9]
	s_mov_b64 s[24:25], 0x100
	s_add_i32 s0, s1, s0
	s_mul_i32 s1, s13, s18
	v_add3_u32 v1, s14, v1, v49
	v_lshl_add_u64 v[30:31], v[6:7], 0, s[24:25]
	s_add_i32 s1, s0, s1
	s_mul_i32 s0, s12, s18
	v_mad_i64_i32 v[6:7], s[12:13], s22, v1, 0
	v_lshlrev_b64 v[6:7], 1, v[6:7]
	v_lshrrev_b32_e32 v0, 1, v0
	v_lshl_add_u64 v[6:7], s[0:1], 1, v[6:7]
	v_and_b32_e32 v8, 24, v0
	v_lshl_add_u64 v[0:1], v[6:7], 0, v[8:9]
	v_lshl_add_u64 v[0:1], s[30:31], 0, v[0:1]
	s_mov_b64 s[0:1], 0x64
	v_cndmask_b32_e64 v6, 0, 1, s[38:39]
	s_mov_b32 s45, s22
	v_cmp_gt_i32_e64 s[8:9], s22, v10
	v_ashrrev_i32_e32 v27, 31, v26
	v_add_u32_e32 v32, s15, v50
	s_waitcnt lgkmcnt(0)
	s_lshl_b32 s47, s23, 6
	v_lshl_add_u64 v[0:1], v[0:1], 0, s[0:1]
	v_or_b32_e32 v53, 64, v10
	s_mov_b32 s48, 0x5040100
	v_cmp_ne_u32_e64 s[12:13], 1, v6
	s_mov_b32 s49, 0xffff
	s_mov_b64 s[30:31], 0x80
	s_branch .LBB2_17
.LBB2_15:                               ;   in Loop: Header=BB2_17 Depth=1
	s_or_b64 exec, exec, s[14:15]
.LBB2_16:                               ;   in Loop: Header=BB2_17 Depth=1
	s_or_b64 exec, exec, s[0:1]
	s_add_i32 s2, s23, s2
	s_cmp_lt_i32 s2, s3
	v_add_u32_e32 v32, s47, v32
	s_barrier
	s_cbranch_scc0 .LBB2_120
.LBB2_17:                               ; =>This Loop Header: Depth=1
                                        ;     Child Loop BB2_23 Depth 2
	s_lshl_b32 s40, s2, 6
	v_or_b32_e32 v8, s40, v50
	v_cmp_gt_i32_e64 s[14:15], s35, v8
	s_and_b64 s[18:19], s[14:15], s[8:9]
	v_mov_b32_e32 v6, 0
	v_mov_b32_e32 v7, 0
	s_and_saveexec_b64 s[0:1], s[18:19]
	s_cbranch_execz .LBB2_19
; %bb.18:                               ;   in Loop: Header=BB2_17 Depth=1
	v_mad_i64_i32 v[6:7], s[18:19], v8, s45, 0
	v_lshl_add_u64 v[6:7], v[6:7], 2, v[28:29]
	global_load_dwordx4 v[6:9], v[6:7], off
	s_waitcnt vmcnt(0)
	v_cvt_pk_bf16_f32 v6, v6, s0
	v_cvt_pk_bf16_f32 v7, v7, v8
	;; [unrolled: 1-line block ×3, first 2 shown]
	v_perm_b32 v6, v7, v6, s48
	v_alignbit_b32 v7, v8, v7, 16
.LBB2_19:                               ;   in Loop: Header=BB2_17 Depth=1
	s_or_b64 exec, exec, s[0:1]
	ds_write_b64 v51, v[6:7]
	v_mov_b64_e32 v[20:21], v[4:5]
	v_mov_b64_e32 v[16:17], v[4:5]
	;; [unrolled: 1-line block ×4, first 2 shown]
	s_and_b64 vcc, exec, s[12:13]
	v_mov_b64_e32 v[18:19], v[2:3]
	v_mov_b64_e32 v[14:15], v[2:3]
	v_mov_b64_e32 v[10:11], v[2:3]
	v_mov_b64_e32 v[6:7], v[2:3]
	s_waitcnt lgkmcnt(0)
	s_barrier
	s_cbranch_vccnz .LBB2_74
; %bb.20:                               ;   in Loop: Header=BB2_17 Depth=1
	v_ashrrev_i32_e32 v33, 31, v32
	v_lshl_add_u64 v[6:7], v[32:33], 2, s[36:37]
	v_mul_lo_u32 v7, s45, v7
	v_mul_lo_u32 v8, s44, v6
	v_mad_u64_u32 v[34:35], s[0:1], s45, v6, v[30:31]
	v_add3_u32 v35, v8, v35, v7
	v_mov_b64_e32 v[20:21], v[4:5]
	v_mov_b64_e32 v[16:17], v[4:5]
	;; [unrolled: 1-line block ×4, first 2 shown]
	s_mov_b32 s41, 0
	s_mov_b32 s42, 1
	v_mov_b64_e32 v[36:37], v[0:1]
	v_mov_b64_e32 v[18:19], v[2:3]
	;; [unrolled: 1-line block ×5, first 2 shown]
	s_branch .LBB2_23
.LBB2_21:                               ;   in Loop: Header=BB2_23 Depth=2
	s_or_b64 exec, exec, s[18:19]
.LBB2_22:                               ;   in Loop: Header=BB2_23 Depth=2
	s_or_b64 exec, exec, s[0:1]
	ds_read_b64 v[18:19], v44 offset:96
	ds_read_b64 v[40:41], v44 offset:2272
	;; [unrolled: 1-line block ×4, first 2 shown]
	s_add_i32 s41, s41, 64
	s_waitcnt vmcnt(0) lgkmcnt(3)
	v_mfma_f32_16x16x16_bf16 v[18:21], v[38:39], v[18:19], v[22:25]
	s_add_i32 s42, s42, 1
	v_lshl_add_u64 v[34:35], v[34:35], 0, s[24:25]
	s_cmp_eq_u32 s34, s41
	s_waitcnt lgkmcnt(2)
	v_mfma_f32_16x16x16_bf16 v[14:17], v[38:39], v[40:41], v[14:17]
	v_lshl_add_u64 v[36:37], v[36:37], 0, s[30:31]
	s_waitcnt lgkmcnt(0)
	s_barrier
	v_mfma_f32_16x16x16_bf16 v[10:13], v[38:39], v[42:43], v[10:13]
	v_mfma_f32_16x16x16_bf16 v[6:9], v[38:39], v[44:45], v[6:9]
	s_cbranch_scc1 .LBB2_74
.LBB2_23:                               ;   Parent Loop BB2_17 Depth=1
                                        ; =>  This Inner Loop Header: Depth=2
	s_add_i32 s0, s42, -1
	s_and_b32 s43, s0, 1
	s_cmp_ge_i32 s42, s33
	s_cbranch_scc1 .LBB2_27
; %bb.24:                               ;   in Loop: Header=BB2_23 Depth=2
	s_waitcnt vmcnt(0)
	v_add_u32_e32 v22, s41, v53
	v_cmp_gt_i32_e32 vcc, s22, v22
	s_and_b64 s[18:19], s[14:15], vcc
	v_mov_b32_e32 v22, 0
	v_mov_b32_e32 v23, 0
	s_and_saveexec_b64 s[0:1], s[18:19]
	s_cbranch_execz .LBB2_26
; %bb.25:                               ;   in Loop: Header=BB2_23 Depth=2
	global_load_dwordx4 v[22:25], v[34:35], off
	s_waitcnt vmcnt(0)
	v_cvt_pk_bf16_f32 v22, v22, s0
	v_cvt_pk_bf16_f32 v23, v23, v24
	;; [unrolled: 1-line block ×3, first 2 shown]
	v_perm_b32 v22, v23, v22, s48
	v_alignbit_b32 v23, v24, v23, 16
.LBB2_26:                               ;   in Loop: Header=BB2_23 Depth=2
	s_or_b64 exec, exec, s[0:1]
	s_xor_b32 s0, s43, 1
	s_mulk_i32 s0, 0x2200
	v_add_u32_e32 v24, s0, v51
	ds_write_b64 v24, v[22:23]
.LBB2_27:                               ;   in Loop: Header=BB2_23 Depth=2
	v_add_u32_e32 v33, s41, v48
	s_waitcnt vmcnt(0)
	v_mov_b32_e32 v40, 0
	v_mov_b32_e32 v38, 0
	;; [unrolled: 1-line block ×3, first 2 shown]
	s_and_saveexec_b64 s[0:1], s[10:11]
	s_cbranch_execz .LBB2_39
; %bb.28:                               ;   in Loop: Header=BB2_23 Depth=2
	v_add_u32_e32 v22, 3, v33
	v_cmp_le_i32_e32 vcc, s22, v22
                                        ; implicit-def: $vgpr39
	s_and_saveexec_b64 s[18:19], vcc
	s_xor_b64 s[18:19], exec, s[18:19]
	s_cbranch_execz .LBB2_36
; %bb.29:                               ;   in Loop: Header=BB2_23 Depth=2
	v_cmp_gt_i32_e32 vcc, s22, v33
	v_mov_b32_e32 v39, 0
	v_mov_b32_e32 v38, 0
	s_and_saveexec_b64 s[38:39], vcc
	s_cbranch_execz .LBB2_31
; %bb.30:                               ;   in Loop: Header=BB2_23 Depth=2
	global_load_ushort v22, v[36:37], off offset:-100
	s_waitcnt vmcnt(0)
	v_and_b32_e32 v38, 0xffff, v22
.LBB2_31:                               ;   in Loop: Header=BB2_23 Depth=2
	s_or_b64 exec, exec, s[38:39]
	v_add_u32_e32 v22, 1, v33
	v_cmp_gt_i32_e32 vcc, s22, v22
	s_and_saveexec_b64 s[38:39], vcc
	s_cbranch_execz .LBB2_33
; %bb.32:                               ;   in Loop: Header=BB2_23 Depth=2
	global_load_ushort v22, v[36:37], off offset:-98
	s_waitcnt vmcnt(0)
	v_perm_b32 v38, v22, v38, s48
.LBB2_33:                               ;   in Loop: Header=BB2_23 Depth=2
	s_or_b64 exec, exec, s[38:39]
	v_add_u32_e32 v22, 2, v33
	v_cmp_gt_i32_e32 vcc, s22, v22
	s_and_saveexec_b64 s[38:39], vcc
	s_cbranch_execz .LBB2_35
; %bb.34:                               ;   in Loop: Header=BB2_23 Depth=2
	global_load_ushort v22, v[36:37], off offset:-96
	s_waitcnt vmcnt(0)
	v_bfi_b32 v39, s49, v22, v39
.LBB2_35:                               ;   in Loop: Header=BB2_23 Depth=2
	s_or_b64 exec, exec, s[38:39]
.LBB2_36:                               ;   in Loop: Header=BB2_23 Depth=2
	s_andn2_saveexec_b64 s[18:19], s[18:19]
	s_cbranch_execz .LBB2_38
; %bb.37:                               ;   in Loop: Header=BB2_23 Depth=2
	global_load_dwordx2 v[38:39], v[36:37], off offset:-100
.LBB2_38:                               ;   in Loop: Header=BB2_23 Depth=2
	s_or_b64 exec, exec, s[18:19]
.LBB2_39:                               ;   in Loop: Header=BB2_23 Depth=2
	s_or_b64 exec, exec, s[0:1]
	s_mulk_i32 s43, 0x2200
	v_add_u32_e32 v44, s43, v52
	ds_read_b64 v[22:23], v44
	ds_read_b64 v[24:25], v44 offset:2176
	ds_read_b64 v[42:43], v44 offset:4352
	;; [unrolled: 1-line block ×3, first 2 shown]
	v_mov_b32_e32 v41, 0
	s_waitcnt vmcnt(0) lgkmcnt(3)
	v_mfma_f32_16x16x16_bf16 v[18:21], v[38:39], v[22:23], v[18:21]
	s_waitcnt lgkmcnt(2)
	v_mfma_f32_16x16x16_bf16 v[14:17], v[38:39], v[24:25], v[14:17]
	s_waitcnt lgkmcnt(1)
	;; [unrolled: 2-line block ×3, first 2 shown]
	v_mfma_f32_16x16x16_bf16 v[6:9], v[38:39], v[46:47], v[6:9]
	s_and_saveexec_b64 s[0:1], s[10:11]
	s_cbranch_execz .LBB2_51
; %bb.40:                               ;   in Loop: Header=BB2_23 Depth=2
	v_add_u32_e32 v10, 19, v33
	v_cmp_le_i32_e32 vcc, s22, v10
                                        ; implicit-def: $vgpr41
	s_and_saveexec_b64 s[18:19], vcc
	s_xor_b64 s[18:19], exec, s[18:19]
	s_cbranch_execz .LBB2_48
; %bb.41:                               ;   in Loop: Header=BB2_23 Depth=2
	v_add_u32_e32 v10, 16, v33
	v_cmp_gt_i32_e32 vcc, s22, v10
	v_mov_b32_e32 v41, 0
	v_mov_b32_e32 v40, 0
	s_and_saveexec_b64 s[38:39], vcc
	s_cbranch_execz .LBB2_43
; %bb.42:                               ;   in Loop: Header=BB2_23 Depth=2
	global_load_ushort v10, v[36:37], off offset:-68
	s_waitcnt vmcnt(0)
	v_and_b32_e32 v40, 0xffff, v10
.LBB2_43:                               ;   in Loop: Header=BB2_23 Depth=2
	s_or_b64 exec, exec, s[38:39]
	v_add_u32_e32 v10, 17, v33
	v_cmp_gt_i32_e32 vcc, s22, v10
	s_and_saveexec_b64 s[38:39], vcc
	s_cbranch_execz .LBB2_45
; %bb.44:                               ;   in Loop: Header=BB2_23 Depth=2
	global_load_ushort v10, v[36:37], off offset:-66
	s_waitcnt vmcnt(0)
	v_perm_b32 v40, v10, v40, s48
.LBB2_45:                               ;   in Loop: Header=BB2_23 Depth=2
	s_or_b64 exec, exec, s[38:39]
	v_add_u32_e32 v10, 18, v33
	v_cmp_gt_i32_e32 vcc, s22, v10
	s_and_saveexec_b64 s[38:39], vcc
	s_cbranch_execz .LBB2_47
; %bb.46:                               ;   in Loop: Header=BB2_23 Depth=2
	global_load_ushort v10, v[36:37], off offset:-64
	s_waitcnt vmcnt(0)
	v_bfi_b32 v41, s49, v10, v41
.LBB2_47:                               ;   in Loop: Header=BB2_23 Depth=2
	s_or_b64 exec, exec, s[38:39]
.LBB2_48:                               ;   in Loop: Header=BB2_23 Depth=2
	s_andn2_saveexec_b64 s[18:19], s[18:19]
	s_cbranch_execz .LBB2_50
; %bb.49:                               ;   in Loop: Header=BB2_23 Depth=2
	global_load_dwordx2 v[40:41], v[36:37], off offset:-68
.LBB2_50:                               ;   in Loop: Header=BB2_23 Depth=2
	s_or_b64 exec, exec, s[18:19]
.LBB2_51:                               ;   in Loop: Header=BB2_23 Depth=2
	s_or_b64 exec, exec, s[0:1]
	ds_read_b64 v[10:11], v44 offset:32
	ds_read_b64 v[38:39], v44 offset:2208
	;; [unrolled: 1-line block ×4, first 2 shown]
	s_waitcnt vmcnt(0) lgkmcnt(3)
	v_mfma_f32_16x16x16_bf16 v[10:13], v[40:41], v[10:11], v[18:21]
	s_waitcnt lgkmcnt(2)
	v_mfma_f32_16x16x16_bf16 v[14:17], v[40:41], v[38:39], v[14:17]
	v_mov_b32_e32 v38, 0
	s_waitcnt lgkmcnt(1)
	v_mfma_f32_16x16x16_bf16 v[18:21], v[40:41], v[42:43], v[22:25]
	v_mov_b32_e32 v42, 0
	v_mov_b32_e32 v43, 0
	s_waitcnt lgkmcnt(0)
	v_mfma_f32_16x16x16_bf16 v[6:9], v[40:41], v[46:47], v[6:9]
	s_and_saveexec_b64 s[0:1], s[10:11]
	s_cbranch_execz .LBB2_63
; %bb.52:                               ;   in Loop: Header=BB2_23 Depth=2
	v_add_u32_e32 v22, 35, v33
	v_cmp_le_i32_e32 vcc, s22, v22
                                        ; implicit-def: $vgpr43
	s_and_saveexec_b64 s[18:19], vcc
	s_xor_b64 s[18:19], exec, s[18:19]
	s_cbranch_execz .LBB2_60
; %bb.53:                               ;   in Loop: Header=BB2_23 Depth=2
	v_add_u32_e32 v22, 32, v33
	v_cmp_gt_i32_e32 vcc, s22, v22
	v_mov_b32_e32 v43, 0
	v_mov_b32_e32 v42, 0
	s_and_saveexec_b64 s[38:39], vcc
	s_cbranch_execz .LBB2_55
; %bb.54:                               ;   in Loop: Header=BB2_23 Depth=2
	global_load_ushort v22, v[36:37], off offset:-36
	s_waitcnt vmcnt(0)
	v_and_b32_e32 v42, 0xffff, v22
.LBB2_55:                               ;   in Loop: Header=BB2_23 Depth=2
	s_or_b64 exec, exec, s[38:39]
	v_add_u32_e32 v22, 33, v33
	v_cmp_gt_i32_e32 vcc, s22, v22
	s_and_saveexec_b64 s[38:39], vcc
	s_cbranch_execz .LBB2_57
; %bb.56:                               ;   in Loop: Header=BB2_23 Depth=2
	global_load_ushort v22, v[36:37], off offset:-34
	s_waitcnt vmcnt(0)
	v_perm_b32 v42, v22, v42, s48
.LBB2_57:                               ;   in Loop: Header=BB2_23 Depth=2
	s_or_b64 exec, exec, s[38:39]
	v_add_u32_e32 v22, 34, v33
	v_cmp_gt_i32_e32 vcc, s22, v22
	s_and_saveexec_b64 s[38:39], vcc
	s_cbranch_execz .LBB2_59
; %bb.58:                               ;   in Loop: Header=BB2_23 Depth=2
	global_load_ushort v22, v[36:37], off offset:-32
	s_waitcnt vmcnt(0)
	v_bfi_b32 v43, s49, v22, v43
.LBB2_59:                               ;   in Loop: Header=BB2_23 Depth=2
	s_or_b64 exec, exec, s[38:39]
.LBB2_60:                               ;   in Loop: Header=BB2_23 Depth=2
	s_andn2_saveexec_b64 s[18:19], s[18:19]
	s_cbranch_execz .LBB2_62
; %bb.61:                               ;   in Loop: Header=BB2_23 Depth=2
	global_load_dwordx2 v[42:43], v[36:37], off offset:-36
.LBB2_62:                               ;   in Loop: Header=BB2_23 Depth=2
	s_or_b64 exec, exec, s[18:19]
.LBB2_63:                               ;   in Loop: Header=BB2_23 Depth=2
	s_or_b64 exec, exec, s[0:1]
	ds_read_b64 v[22:23], v44 offset:64
	ds_read_b64 v[40:41], v44 offset:2240
	;; [unrolled: 1-line block ×4, first 2 shown]
	v_mov_b32_e32 v39, 0
	s_waitcnt vmcnt(0) lgkmcnt(3)
	v_mfma_f32_16x16x16_bf16 v[22:25], v[42:43], v[22:23], v[10:13]
	s_waitcnt lgkmcnt(2)
	v_mfma_f32_16x16x16_bf16 v[14:17], v[42:43], v[40:41], v[14:17]
	s_waitcnt lgkmcnt(1)
	;; [unrolled: 2-line block ×3, first 2 shown]
	v_mfma_f32_16x16x16_bf16 v[6:9], v[42:43], v[54:55], v[6:9]
	s_and_saveexec_b64 s[0:1], s[10:11]
	s_cbranch_execz .LBB2_22
; %bb.64:                               ;   in Loop: Header=BB2_23 Depth=2
	v_add_u32_e32 v18, 51, v33
	v_cmp_le_i32_e32 vcc, s22, v18
                                        ; implicit-def: $vgpr39
	s_and_saveexec_b64 s[18:19], vcc
	s_xor_b64 s[18:19], exec, s[18:19]
	s_cbranch_execz .LBB2_72
; %bb.65:                               ;   in Loop: Header=BB2_23 Depth=2
	v_add_u32_e32 v18, 48, v33
	v_cmp_gt_i32_e32 vcc, s22, v18
	v_mov_b32_e32 v39, 0
	v_mov_b32_e32 v38, 0
	s_and_saveexec_b64 s[38:39], vcc
	s_cbranch_execz .LBB2_67
; %bb.66:                               ;   in Loop: Header=BB2_23 Depth=2
	global_load_ushort v18, v[36:37], off offset:-4
	s_waitcnt vmcnt(0)
	v_and_b32_e32 v38, 0xffff, v18
.LBB2_67:                               ;   in Loop: Header=BB2_23 Depth=2
	s_or_b64 exec, exec, s[38:39]
	v_add_u32_e32 v18, 49, v33
	v_cmp_gt_i32_e32 vcc, s22, v18
	s_and_saveexec_b64 s[38:39], vcc
	s_cbranch_execz .LBB2_69
; %bb.68:                               ;   in Loop: Header=BB2_23 Depth=2
	global_load_ushort v18, v[36:37], off offset:-2
	s_waitcnt vmcnt(0)
	v_perm_b32 v38, v18, v38, s48
.LBB2_69:                               ;   in Loop: Header=BB2_23 Depth=2
	s_or_b64 exec, exec, s[38:39]
	v_add_u32_e32 v18, 50, v33
	v_cmp_gt_i32_e32 vcc, s22, v18
	s_and_saveexec_b64 s[38:39], vcc
	s_cbranch_execz .LBB2_71
; %bb.70:                               ;   in Loop: Header=BB2_23 Depth=2
	global_load_ushort v18, v[36:37], off
	s_waitcnt vmcnt(0)
	v_bfi_b32 v39, s49, v18, v39
.LBB2_71:                               ;   in Loop: Header=BB2_23 Depth=2
	s_or_b64 exec, exec, s[38:39]
.LBB2_72:                               ;   in Loop: Header=BB2_23 Depth=2
	s_andn2_saveexec_b64 s[18:19], s[18:19]
	s_cbranch_execz .LBB2_21
; %bb.73:                               ;   in Loop: Header=BB2_23 Depth=2
	global_load_dwordx2 v[38:39], v[36:37], off offset:-4
	s_branch .LBB2_21
.LBB2_74:                               ;   in Loop: Header=BB2_17 Depth=1
	v_or_b32_e32 v46, s40, v49
	v_cmp_gt_i32_e32 vcc, s35, v46
	s_waitcnt vmcnt(0)
	v_mov_b32_e32 v24, 0
	v_mov_b64_e32 v[36:37], 0
	v_mov_b64_e32 v[44:45], 0
	v_mov_b32_e32 v40, 0
	s_and_saveexec_b64 s[0:1], vcc
	s_cbranch_execz .LBB2_76
; %bb.75:                               ;   in Loop: Header=BB2_17 Depth=1
	v_ashrrev_i32_e32 v47, 31, v46
	v_lshl_add_u64 v[22:23], v[46:47], 2, s[26:27]
	global_load_dword v40, v[22:23], off
	v_mad_i64_i32 v[22:23], s[14:15], v46, s46, 0
	v_lshl_add_u64 v[44:45], v[22:23], 2, s[28:29]
.LBB2_76:                               ;   in Loop: Header=BB2_17 Depth=1
	s_or_b64 exec, exec, s[0:1]
	v_or_b32_e32 v22, 16, v46
	v_cmp_gt_i32_e32 vcc, s35, v22
	s_and_saveexec_b64 s[0:1], vcc
	s_cbranch_execz .LBB2_78
; %bb.77:                               ;   in Loop: Header=BB2_17 Depth=1
	v_ashrrev_i32_e32 v47, 31, v46
	v_lshl_add_u64 v[24:25], v[46:47], 2, s[26:27]
	global_load_dword v24, v[24:25], off offset:64
	v_mad_i64_i32 v[22:23], s[14:15], v22, s46, 0
	v_lshl_add_u64 v[36:37], v[22:23], 2, s[28:29]
.LBB2_78:                               ;   in Loop: Header=BB2_17 Depth=1
	s_or_b64 exec, exec, s[0:1]
	v_or_b32_e32 v23, 32, v46
	v_cmp_gt_i32_e32 vcc, s35, v23
	v_mov_b32_e32 v22, 0
	v_mov_b64_e32 v[34:35], 0
	v_mov_b64_e32 v[42:43], 0
	v_mov_b32_e32 v38, 0
	s_and_saveexec_b64 s[0:1], vcc
	s_cbranch_execz .LBB2_80
; %bb.79:                               ;   in Loop: Header=BB2_17 Depth=1
	v_ashrrev_i32_e32 v47, 31, v46
	v_lshl_add_u64 v[38:39], v[46:47], 2, s[26:27]
	global_load_dword v38, v[38:39], off offset:128
	v_mad_i64_i32 v[42:43], s[14:15], v23, s46, 0
	v_lshl_add_u64 v[42:43], v[42:43], 2, s[28:29]
.LBB2_80:                               ;   in Loop: Header=BB2_17 Depth=1
	s_or_b64 exec, exec, s[0:1]
	v_or_b32_e32 v23, 48, v46
	v_cmp_gt_i32_e32 vcc, s35, v23
	s_and_saveexec_b64 s[0:1], vcc
	s_cbranch_execz .LBB2_82
; %bb.81:                               ;   in Loop: Header=BB2_17 Depth=1
	v_ashrrev_i32_e32 v47, 31, v46
	v_lshl_add_u64 v[34:35], v[46:47], 2, s[26:27]
	global_load_dword v22, v[34:35], off offset:192
	v_mad_i64_i32 v[34:35], s[14:15], v23, s46, 0
	v_lshl_add_u64 v[34:35], v[34:35], 2, s[28:29]
.LBB2_82:                               ;   in Loop: Header=BB2_17 Depth=1
	s_or_b64 exec, exec, s[0:1]
	v_cmp_ne_u64_e32 vcc, 0, v[44:45]
	s_and_saveexec_b64 s[0:1], s[6:7]
	s_xor_b64 s[38:39], exec, s[0:1]
	s_cbranch_execz .LBB2_102
; %bb.83:                               ;   in Loop: Header=BB2_17 Depth=1
	v_cmp_ne_u64_e64 s[18:19], 0, v[36:37]
	v_cmp_ne_u64_e64 s[14:15], 0, v[42:43]
	;; [unrolled: 1-line block ×3, first 2 shown]
	s_and_saveexec_b64 s[40:41], s[16:17]
	s_cbranch_execz .LBB2_89
; %bb.84:                               ;   in Loop: Header=BB2_17 Depth=1
	s_and_saveexec_b64 s[42:43], vcc
	s_cbranch_execnz .LBB2_111
; %bb.85:                               ;   in Loop: Header=BB2_17 Depth=1
	s_or_b64 exec, exec, s[42:43]
	s_and_saveexec_b64 s[42:43], s[18:19]
	s_cbranch_execnz .LBB2_112
.LBB2_86:                               ;   in Loop: Header=BB2_17 Depth=1
	s_or_b64 exec, exec, s[42:43]
	s_and_saveexec_b64 s[42:43], s[14:15]
	s_cbranch_execnz .LBB2_113
.LBB2_87:                               ;   in Loop: Header=BB2_17 Depth=1
	s_or_b64 exec, exec, s[42:43]
	s_and_b64 exec, exec, s[0:1]
	s_cbranch_execz .LBB2_89
.LBB2_88:                               ;   in Loop: Header=BB2_17 Depth=1
	v_lshl_add_u64 v[46:47], v[26:27], 2, v[34:35]
	s_waitcnt vmcnt(0)
	v_mul_f32_e32 v6, v22, v6
	global_store_dword v[46:47], v6, off
.LBB2_89:                               ;   in Loop: Header=BB2_17 Depth=1
	s_or_b64 exec, exec, s[40:41]
	s_and_saveexec_b64 s[40:41], s[20:21]
	s_cbranch_execz .LBB2_95
; %bb.90:                               ;   in Loop: Header=BB2_17 Depth=1
	s_and_saveexec_b64 s[42:43], vcc
	s_cbranch_execnz .LBB2_114
; %bb.91:                               ;   in Loop: Header=BB2_17 Depth=1
	s_or_b64 exec, exec, s[42:43]
	s_and_saveexec_b64 s[42:43], s[18:19]
	s_cbranch_execnz .LBB2_115
.LBB2_92:                               ;   in Loop: Header=BB2_17 Depth=1
	s_or_b64 exec, exec, s[42:43]
	s_and_saveexec_b64 s[42:43], s[14:15]
	s_cbranch_execnz .LBB2_116
.LBB2_93:                               ;   in Loop: Header=BB2_17 Depth=1
	s_or_b64 exec, exec, s[42:43]
	s_and_b64 exec, exec, s[0:1]
	s_cbranch_execz .LBB2_95
.LBB2_94:                               ;   in Loop: Header=BB2_17 Depth=1
	v_lshl_add_u64 v[10:11], v[26:27], 2, v[34:35]
	s_waitcnt vmcnt(0)
	v_mul_f32_e32 v6, v22, v7
	global_store_dword v[10:11], v6, off offset:4
.LBB2_95:                               ;   in Loop: Header=BB2_17 Depth=1
	s_or_b64 exec, exec, s[40:41]
	s_and_saveexec_b64 s[40:41], s[4:5]
	s_cbranch_execz .LBB2_101
; %bb.96:                               ;   in Loop: Header=BB2_17 Depth=1
	s_and_saveexec_b64 s[42:43], vcc
	s_cbranch_execnz .LBB2_117
; %bb.97:                               ;   in Loop: Header=BB2_17 Depth=1
	s_or_b64 exec, exec, s[42:43]
	s_and_saveexec_b64 s[42:43], s[18:19]
	s_cbranch_execnz .LBB2_118
.LBB2_98:                               ;   in Loop: Header=BB2_17 Depth=1
	s_or_b64 exec, exec, s[42:43]
	s_and_saveexec_b64 s[18:19], s[14:15]
	s_cbranch_execnz .LBB2_119
.LBB2_99:                               ;   in Loop: Header=BB2_17 Depth=1
	s_or_b64 exec, exec, s[18:19]
	s_and_b64 exec, exec, s[0:1]
	s_cbranch_execz .LBB2_101
.LBB2_100:                              ;   in Loop: Header=BB2_17 Depth=1
	v_lshl_add_u64 v[6:7], v[26:27], 2, v[34:35]
	s_waitcnt vmcnt(0)
	v_mul_f32_e32 v8, v22, v8
	global_store_dword v[6:7], v8, off offset:8
.LBB2_101:                              ;   in Loop: Header=BB2_17 Depth=1
	s_or_b64 exec, exec, s[40:41]
                                        ; implicit-def: $vgpr18_vgpr19_vgpr20_vgpr21
                                        ; implicit-def: $vgpr14_vgpr15_vgpr16_vgpr17
                                        ; implicit-def: $vgpr10_vgpr11_vgpr12_vgpr13
                                        ; implicit-def: $vgpr6_vgpr7_vgpr8_vgpr9
                                        ; implicit-def: $vgpr44_vgpr45
                                        ; implicit-def: $vgpr40
                                        ; implicit-def: $vgpr36_vgpr37
                                        ; implicit-def: $vgpr24
                                        ; implicit-def: $vgpr42_vgpr43
                                        ; implicit-def: $vgpr38
                                        ; implicit-def: $vgpr34_vgpr35
                                        ; implicit-def: $vgpr22
.LBB2_102:                              ;   in Loop: Header=BB2_17 Depth=1
	s_andn2_saveexec_b64 s[0:1], s[38:39]
	s_cbranch_execz .LBB2_16
; %bb.103:                              ;   in Loop: Header=BB2_17 Depth=1
	s_and_saveexec_b64 s[14:15], vcc
	s_cbranch_execnz .LBB2_107
; %bb.104:                              ;   in Loop: Header=BB2_17 Depth=1
	s_or_b64 exec, exec, s[14:15]
	v_cmp_ne_u64_e32 vcc, 0, v[36:37]
	s_and_saveexec_b64 s[14:15], vcc
	s_cbranch_execnz .LBB2_108
.LBB2_105:                              ;   in Loop: Header=BB2_17 Depth=1
	s_or_b64 exec, exec, s[14:15]
	v_cmp_ne_u64_e32 vcc, 0, v[42:43]
	s_and_saveexec_b64 s[14:15], vcc
	s_cbranch_execnz .LBB2_109
.LBB2_106:                              ;   in Loop: Header=BB2_17 Depth=1
	s_or_b64 exec, exec, s[14:15]
	v_cmp_ne_u64_e32 vcc, 0, v[34:35]
	s_and_saveexec_b64 s[14:15], vcc
	s_cbranch_execz .LBB2_15
	s_branch .LBB2_110
.LBB2_107:                              ;   in Loop: Header=BB2_17 Depth=1
	v_lshl_add_u64 v[44:45], v[26:27], 2, v[44:45]
	s_waitcnt vmcnt(0)
	v_pk_mul_f32 v[20:21], v[20:21], v[40:41] op_sel_hi:[1,0]
	v_pk_mul_f32 v[18:19], v[18:19], v[40:41] op_sel_hi:[1,0]
	global_store_dwordx4 v[44:45], v[18:21], off
	s_or_b64 exec, exec, s[14:15]
	v_cmp_ne_u64_e32 vcc, 0, v[36:37]
	s_and_saveexec_b64 s[14:15], vcc
	s_cbranch_execz .LBB2_105
.LBB2_108:                              ;   in Loop: Header=BB2_17 Depth=1
	v_lshl_add_u64 v[18:19], v[26:27], 2, v[36:37]
	s_waitcnt vmcnt(0)
	v_pk_mul_f32 v[16:17], v[16:17], v[24:25] op_sel_hi:[1,0]
	v_pk_mul_f32 v[14:15], v[14:15], v[24:25] op_sel_hi:[1,0]
	global_store_dwordx4 v[18:19], v[14:17], off
	s_or_b64 exec, exec, s[14:15]
	v_cmp_ne_u64_e32 vcc, 0, v[42:43]
	s_and_saveexec_b64 s[14:15], vcc
	s_cbranch_execz .LBB2_106
.LBB2_109:                              ;   in Loop: Header=BB2_17 Depth=1
	v_lshl_add_u64 v[14:15], v[26:27], 2, v[42:43]
	s_waitcnt vmcnt(0)
	v_pk_mul_f32 v[12:13], v[12:13], v[38:39] op_sel_hi:[1,0]
	v_pk_mul_f32 v[10:11], v[10:11], v[38:39] op_sel_hi:[1,0]
	global_store_dwordx4 v[14:15], v[10:13], off
	s_or_b64 exec, exec, s[14:15]
	v_cmp_ne_u64_e32 vcc, 0, v[34:35]
	s_and_saveexec_b64 s[14:15], vcc
	s_cbranch_execz .LBB2_15
.LBB2_110:                              ;   in Loop: Header=BB2_17 Depth=1
	v_lshl_add_u64 v[10:11], v[26:27], 2, v[34:35]
	s_waitcnt vmcnt(0)
	v_pk_mul_f32 v[8:9], v[8:9], v[22:23] op_sel_hi:[1,0]
	v_pk_mul_f32 v[6:7], v[6:7], v[22:23] op_sel_hi:[1,0]
	global_store_dwordx4 v[10:11], v[6:9], off
	s_branch .LBB2_15
.LBB2_111:                              ;   in Loop: Header=BB2_17 Depth=1
	v_lshl_add_u64 v[46:47], v[26:27], 2, v[44:45]
	s_waitcnt vmcnt(0)
	v_mul_f32_e32 v9, v40, v18
	global_store_dword v[46:47], v9, off
	s_or_b64 exec, exec, s[42:43]
	s_and_saveexec_b64 s[42:43], s[18:19]
	s_cbranch_execz .LBB2_86
.LBB2_112:                              ;   in Loop: Header=BB2_17 Depth=1
	v_lshl_add_u64 v[46:47], v[26:27], 2, v[36:37]
	s_waitcnt vmcnt(0)
	v_mul_f32_e32 v9, v24, v14
	global_store_dword v[46:47], v9, off
	s_or_b64 exec, exec, s[42:43]
	s_and_saveexec_b64 s[42:43], s[14:15]
	s_cbranch_execz .LBB2_87
.LBB2_113:                              ;   in Loop: Header=BB2_17 Depth=1
	v_lshl_add_u64 v[46:47], v[26:27], 2, v[42:43]
	s_waitcnt vmcnt(0)
	v_mul_f32_e32 v9, v38, v10
	global_store_dword v[46:47], v9, off
	s_or_b64 exec, exec, s[42:43]
	s_and_b64 exec, exec, s[0:1]
	s_cbranch_execnz .LBB2_88
	s_branch .LBB2_89
.LBB2_114:                              ;   in Loop: Header=BB2_17 Depth=1
	v_lshl_add_u64 v[46:47], v[26:27], 2, v[44:45]
	s_waitcnt vmcnt(0)
	v_mul_f32_e32 v6, v40, v19
	global_store_dword v[46:47], v6, off offset:4
	s_or_b64 exec, exec, s[42:43]
	s_and_saveexec_b64 s[42:43], s[18:19]
	s_cbranch_execz .LBB2_92
.LBB2_115:                              ;   in Loop: Header=BB2_17 Depth=1
	v_lshl_add_u64 v[18:19], v[26:27], 2, v[36:37]
	s_waitcnt vmcnt(0)
	v_mul_f32_e32 v6, v24, v15
	global_store_dword v[18:19], v6, off offset:4
	s_or_b64 exec, exec, s[42:43]
	s_and_saveexec_b64 s[42:43], s[14:15]
	s_cbranch_execz .LBB2_93
.LBB2_116:                              ;   in Loop: Header=BB2_17 Depth=1
	v_lshl_add_u64 v[14:15], v[26:27], 2, v[42:43]
	s_waitcnt vmcnt(0)
	v_mul_f32_e32 v6, v38, v11
	global_store_dword v[14:15], v6, off offset:4
	s_or_b64 exec, exec, s[42:43]
	s_and_b64 exec, exec, s[0:1]
	s_cbranch_execnz .LBB2_94
	s_branch .LBB2_95
.LBB2_117:                              ;   in Loop: Header=BB2_17 Depth=1
	v_lshl_add_u64 v[6:7], v[26:27], 2, v[44:45]
	s_waitcnt vmcnt(0)
	v_mul_f32_e32 v9, v40, v20
	global_store_dword v[6:7], v9, off offset:8
	s_or_b64 exec, exec, s[42:43]
	s_and_saveexec_b64 s[42:43], s[18:19]
	s_cbranch_execz .LBB2_98
.LBB2_118:                              ;   in Loop: Header=BB2_17 Depth=1
	v_lshl_add_u64 v[6:7], v[26:27], 2, v[36:37]
	s_waitcnt vmcnt(0)
	v_mul_f32_e32 v9, v24, v16
	global_store_dword v[6:7], v9, off offset:8
	s_or_b64 exec, exec, s[42:43]
	s_and_saveexec_b64 s[18:19], s[14:15]
	s_cbranch_execz .LBB2_99
.LBB2_119:                              ;   in Loop: Header=BB2_17 Depth=1
	v_lshl_add_u64 v[6:7], v[26:27], 2, v[42:43]
	s_waitcnt vmcnt(0)
	v_mul_f32_e32 v9, v38, v12
	global_store_dword v[6:7], v9, off offset:8
	s_or_b64 exec, exec, s[18:19]
	s_and_b64 exec, exec, s[0:1]
	s_cbranch_execnz .LBB2_100
	s_branch .LBB2_101
.LBB2_120:
	s_endpgm
	.section	.rodata,"a",@progbits
	.p2align	6, 0x0
	.amdhsa_kernel _Z26moe_mlp2_store_mfma_kernelPKiiiPKfS2_PfPK14__hip_bfloat16S6_iixx
		.amdhsa_group_segment_fixed_size 17408
		.amdhsa_private_segment_fixed_size 0
		.amdhsa_kernarg_size 336
		.amdhsa_user_sgpr_count 2
		.amdhsa_user_sgpr_dispatch_ptr 0
		.amdhsa_user_sgpr_queue_ptr 0
		.amdhsa_user_sgpr_kernarg_segment_ptr 1
		.amdhsa_user_sgpr_dispatch_id 0
		.amdhsa_user_sgpr_kernarg_preload_length 0
		.amdhsa_user_sgpr_kernarg_preload_offset 0
		.amdhsa_user_sgpr_private_segment_size 0
		.amdhsa_uses_dynamic_stack 0
		.amdhsa_enable_private_segment 0
		.amdhsa_system_sgpr_workgroup_id_x 1
		.amdhsa_system_sgpr_workgroup_id_y 1
		.amdhsa_system_sgpr_workgroup_id_z 1
		.amdhsa_system_sgpr_workgroup_info 0
		.amdhsa_system_vgpr_workitem_id 0
		.amdhsa_next_free_vgpr 56
		.amdhsa_next_free_sgpr 50
		.amdhsa_accum_offset 56
		.amdhsa_reserve_vcc 1
		.amdhsa_float_round_mode_32 0
		.amdhsa_float_round_mode_16_64 0
		.amdhsa_float_denorm_mode_32 3
		.amdhsa_float_denorm_mode_16_64 3
		.amdhsa_dx10_clamp 1
		.amdhsa_ieee_mode 1
		.amdhsa_fp16_overflow 0
		.amdhsa_tg_split 0
		.amdhsa_exception_fp_ieee_invalid_op 0
		.amdhsa_exception_fp_denorm_src 0
		.amdhsa_exception_fp_ieee_div_zero 0
		.amdhsa_exception_fp_ieee_overflow 0
		.amdhsa_exception_fp_ieee_underflow 0
		.amdhsa_exception_fp_ieee_inexact 0
		.amdhsa_exception_int_div_zero 0
	.end_amdhsa_kernel
	.text
.Lfunc_end2:
	.size	_Z26moe_mlp2_store_mfma_kernelPKiiiPKfS2_PfPK14__hip_bfloat16S6_iixx, .Lfunc_end2-_Z26moe_mlp2_store_mfma_kernelPKiiiPKfS2_PfPK14__hip_bfloat16S6_iixx
                                        ; -- End function
	.set _Z26moe_mlp2_store_mfma_kernelPKiiiPKfS2_PfPK14__hip_bfloat16S6_iixx.num_vgpr, 56
	.set _Z26moe_mlp2_store_mfma_kernelPKiiiPKfS2_PfPK14__hip_bfloat16S6_iixx.num_agpr, 0
	.set _Z26moe_mlp2_store_mfma_kernelPKiiiPKfS2_PfPK14__hip_bfloat16S6_iixx.numbered_sgpr, 50
	.set _Z26moe_mlp2_store_mfma_kernelPKiiiPKfS2_PfPK14__hip_bfloat16S6_iixx.num_named_barrier, 0
	.set _Z26moe_mlp2_store_mfma_kernelPKiiiPKfS2_PfPK14__hip_bfloat16S6_iixx.private_seg_size, 0
	.set _Z26moe_mlp2_store_mfma_kernelPKiiiPKfS2_PfPK14__hip_bfloat16S6_iixx.uses_vcc, 1
	.set _Z26moe_mlp2_store_mfma_kernelPKiiiPKfS2_PfPK14__hip_bfloat16S6_iixx.uses_flat_scratch, 0
	.set _Z26moe_mlp2_store_mfma_kernelPKiiiPKfS2_PfPK14__hip_bfloat16S6_iixx.has_dyn_sized_stack, 0
	.set _Z26moe_mlp2_store_mfma_kernelPKiiiPKfS2_PfPK14__hip_bfloat16S6_iixx.has_recursion, 0
	.set _Z26moe_mlp2_store_mfma_kernelPKiiiPKfS2_PfPK14__hip_bfloat16S6_iixx.has_indirect_call, 0
	.section	.AMDGPU.csdata,"",@progbits
; Kernel info:
; codeLenInByte = 3644
; TotalNumSgprs: 56
; NumVgprs: 56
; NumAgprs: 0
; TotalNumVgprs: 56
; ScratchSize: 0
; MemoryBound: 0
; FloatMode: 240
; IeeeMode: 1
; LDSByteSize: 17408 bytes/workgroup (compile time only)
; SGPRBlocks: 6
; VGPRBlocks: 6
; NumSGPRsForWavesPerEU: 56
; NumVGPRsForWavesPerEU: 56
; AccumOffset: 56
; Occupancy: 8
; WaveLimiterHint : 1
; COMPUTE_PGM_RSRC2:SCRATCH_EN: 0
; COMPUTE_PGM_RSRC2:USER_SGPR: 2
; COMPUTE_PGM_RSRC2:TRAP_HANDLER: 0
; COMPUTE_PGM_RSRC2:TGID_X_EN: 1
; COMPUTE_PGM_RSRC2:TGID_Y_EN: 1
; COMPUTE_PGM_RSRC2:TGID_Z_EN: 1
; COMPUTE_PGM_RSRC2:TIDIG_COMP_CNT: 0
; COMPUTE_PGM_RSRC3_GFX90A:ACCUM_OFFSET: 13
; COMPUTE_PGM_RSRC3_GFX90A:TG_SPLIT: 0
	.text
	.protected	_Z36accumulate_remote_assignments_kernelPKfPKiiiiPf ; -- Begin function _Z36accumulate_remote_assignments_kernelPKfPKiiiiPf
	.globl	_Z36accumulate_remote_assignments_kernelPKfPKiiiiPf
	.p2align	8
	.type	_Z36accumulate_remote_assignments_kernelPKfPKiiiiPf,@function
_Z36accumulate_remote_assignments_kernelPKfPKiiiiPf: ; @_Z36accumulate_remote_assignments_kernelPKfPKiiiiPf
; %bb.0:
	s_load_dword s8, s[0:1], 0x34
	s_load_dwordx4 s[4:7], s[0:1], 0x10
	s_waitcnt lgkmcnt(0)
	s_and_b32 s7, s8, 0xffff
	s_mul_i32 s2, s2, s7
	v_add_u32_e32 v0, s2, v0
	s_cmp_lt_i32 s3, s5
	v_cmp_gt_i32_e32 vcc, s6, v0
	s_cselect_b64 s[8:9], -1, 0
	s_and_b64 s[8:9], s[8:9], vcc
	s_and_saveexec_b64 s[10:11], s[8:9]
	s_cbranch_execz .LBB3_2
; %bb.1:
	s_load_dwordx4 s[8:11], s[0:1], 0x0
	s_load_dwordx2 s[12:13], s[0:1], 0x20
	s_add_i32 s0, s4, s3
	s_ashr_i32 s1, s0, 31
	s_lshl_b64 s[0:1], s[0:1], 2
	s_waitcnt lgkmcnt(0)
	s_add_u32 s0, s10, s0
	s_addc_u32 s1, s11, s1
	s_load_dword s0, s[0:1], 0x0
	s_mul_hi_i32 s1, s6, s3
	v_ashrrev_i32_e32 v1, 31, v0
	v_lshlrev_b64 v[0:1], 2, v[0:1]
	s_waitcnt lgkmcnt(0)
	s_mul_hi_i32 s5, s0, s6
	s_mul_i32 s4, s0, s6
	s_lshl_b64 s[4:5], s[4:5], 2
	s_add_u32 s4, s12, s4
	s_mul_i32 s0, s6, s3
	s_addc_u32 s5, s13, s5
	s_lshl_b64 s[0:1], s[0:1], 2
	s_add_u32 s0, s8, s0
	s_addc_u32 s1, s9, s1
	v_lshl_add_u64 v[2:3], s[0:1], 0, v[0:1]
	global_load_dword v2, v[2:3], off
	v_lshl_add_u64 v[0:1], s[4:5], 0, v[0:1]
	s_waitcnt vmcnt(0)
	global_atomic_add_f32 v[0:1], v2, off
.LBB3_2:
	s_endpgm
	.section	.rodata,"a",@progbits
	.p2align	6, 0x0
	.amdhsa_kernel _Z36accumulate_remote_assignments_kernelPKfPKiiiiPf
		.amdhsa_group_segment_fixed_size 0
		.amdhsa_private_segment_fixed_size 0
		.amdhsa_kernarg_size 296
		.amdhsa_user_sgpr_count 2
		.amdhsa_user_sgpr_dispatch_ptr 0
		.amdhsa_user_sgpr_queue_ptr 0
		.amdhsa_user_sgpr_kernarg_segment_ptr 1
		.amdhsa_user_sgpr_dispatch_id 0
		.amdhsa_user_sgpr_kernarg_preload_length 0
		.amdhsa_user_sgpr_kernarg_preload_offset 0
		.amdhsa_user_sgpr_private_segment_size 0
		.amdhsa_uses_dynamic_stack 0
		.amdhsa_enable_private_segment 0
		.amdhsa_system_sgpr_workgroup_id_x 1
		.amdhsa_system_sgpr_workgroup_id_y 1
		.amdhsa_system_sgpr_workgroup_id_z 0
		.amdhsa_system_sgpr_workgroup_info 0
		.amdhsa_system_vgpr_workitem_id 0
		.amdhsa_next_free_vgpr 4
		.amdhsa_next_free_sgpr 14
		.amdhsa_accum_offset 4
		.amdhsa_reserve_vcc 1
		.amdhsa_float_round_mode_32 0
		.amdhsa_float_round_mode_16_64 0
		.amdhsa_float_denorm_mode_32 3
		.amdhsa_float_denorm_mode_16_64 3
		.amdhsa_dx10_clamp 1
		.amdhsa_ieee_mode 1
		.amdhsa_fp16_overflow 0
		.amdhsa_tg_split 0
		.amdhsa_exception_fp_ieee_invalid_op 0
		.amdhsa_exception_fp_denorm_src 0
		.amdhsa_exception_fp_ieee_div_zero 0
		.amdhsa_exception_fp_ieee_overflow 0
		.amdhsa_exception_fp_ieee_underflow 0
		.amdhsa_exception_fp_ieee_inexact 0
		.amdhsa_exception_int_div_zero 0
	.end_amdhsa_kernel
	.text
.Lfunc_end3:
	.size	_Z36accumulate_remote_assignments_kernelPKfPKiiiiPf, .Lfunc_end3-_Z36accumulate_remote_assignments_kernelPKfPKiiiiPf
                                        ; -- End function
	.set _Z36accumulate_remote_assignments_kernelPKfPKiiiiPf.num_vgpr, 4
	.set _Z36accumulate_remote_assignments_kernelPKfPKiiiiPf.num_agpr, 0
	.set _Z36accumulate_remote_assignments_kernelPKfPKiiiiPf.numbered_sgpr, 14
	.set _Z36accumulate_remote_assignments_kernelPKfPKiiiiPf.num_named_barrier, 0
	.set _Z36accumulate_remote_assignments_kernelPKfPKiiiiPf.private_seg_size, 0
	.set _Z36accumulate_remote_assignments_kernelPKfPKiiiiPf.uses_vcc, 1
	.set _Z36accumulate_remote_assignments_kernelPKfPKiiiiPf.uses_flat_scratch, 0
	.set _Z36accumulate_remote_assignments_kernelPKfPKiiiiPf.has_dyn_sized_stack, 0
	.set _Z36accumulate_remote_assignments_kernelPKfPKiiiiPf.has_recursion, 0
	.set _Z36accumulate_remote_assignments_kernelPKfPKiiiiPf.has_indirect_call, 0
	.section	.AMDGPU.csdata,"",@progbits
; Kernel info:
; codeLenInByte = 204
; TotalNumSgprs: 20
; NumVgprs: 4
; NumAgprs: 0
; TotalNumVgprs: 4
; ScratchSize: 0
; MemoryBound: 0
; FloatMode: 240
; IeeeMode: 1
; LDSByteSize: 0 bytes/workgroup (compile time only)
; SGPRBlocks: 2
; VGPRBlocks: 0
; NumSGPRsForWavesPerEU: 20
; NumVGPRsForWavesPerEU: 4
; AccumOffset: 4
; Occupancy: 8
; WaveLimiterHint : 1
; COMPUTE_PGM_RSRC2:SCRATCH_EN: 0
; COMPUTE_PGM_RSRC2:USER_SGPR: 2
; COMPUTE_PGM_RSRC2:TRAP_HANDLER: 0
; COMPUTE_PGM_RSRC2:TGID_X_EN: 1
; COMPUTE_PGM_RSRC2:TGID_Y_EN: 1
; COMPUTE_PGM_RSRC2:TGID_Z_EN: 0
; COMPUTE_PGM_RSRC2:TIDIG_COMP_CNT: 0
; COMPUTE_PGM_RSRC3_GFX90A:ACCUM_OFFSET: 0
; COMPUTE_PGM_RSRC3_GFX90A:TG_SPLIT: 0
	.text
	.p2alignl 6, 3212836864
	.fill 256, 4, 3212836864
	.section	.AMDGPU.gpr_maximums,"",@progbits
	.set amdgpu.max_num_vgpr, 0
	.set amdgpu.max_num_agpr, 0
	.set amdgpu.max_num_sgpr, 0
	.text
	.type	__hip_cuid_9f5ac5685766195a,@object ; @__hip_cuid_9f5ac5685766195a
	.section	.bss,"aw",@nobits
	.globl	__hip_cuid_9f5ac5685766195a
__hip_cuid_9f5ac5685766195a:
	.byte	0                               ; 0x0
	.size	__hip_cuid_9f5ac5685766195a, 1

	.ident	"AMD clang version 22.0.0git (https://github.com/RadeonOpenCompute/llvm-project roc-7.2.4 26084 f58b06dce1f9c15707c5f808fd002e18c2accf7e)"
	.section	".note.GNU-stack","",@progbits
	.addrsig
	.addrsig_sym __hip_cuid_9f5ac5685766195a
	.amdgpu_metadata
---
amdhsa.kernels:
  - .agpr_count:     0
    .args:
      - .actual_access:  read_only
        .address_space:  global
        .offset:         0
        .size:           8
        .value_kind:     global_buffer
      - .offset:         8
        .size:           4
        .value_kind:     by_value
      - .offset:         12
        .size:           4
        .value_kind:     by_value
      - .actual_access:  read_only
        .address_space:  global
        .offset:         16
        .size:           8
        .value_kind:     global_buffer
      - .actual_access:  write_only
        .address_space:  global
        .offset:         24
        .size:           8
        .value_kind:     global_buffer
      - .actual_access:  read_only
        .address_space:  global
        .offset:         32
        .size:           8
        .value_kind:     global_buffer
      - .actual_access:  read_only
        .address_space:  global
        .offset:         40
        .size:           8
        .value_kind:     global_buffer
      - .offset:         48
        .size:           4
        .value_kind:     by_value
      - .offset:         52
        .size:           4
        .value_kind:     by_value
      - .offset:         56
        .size:           8
        .value_kind:     by_value
      - .offset:         64
        .size:           8
        .value_kind:     by_value
      - .offset:         72
        .size:           4
        .value_kind:     by_value
      - .offset:         76
        .size:           4
        .value_kind:     by_value
      - .offset:         80
        .size:           4
        .value_kind:     hidden_block_count_x
      - .offset:         84
        .size:           4
        .value_kind:     hidden_block_count_y
      - .offset:         88
        .size:           4
        .value_kind:     hidden_block_count_z
      - .offset:         92
        .size:           2
        .value_kind:     hidden_group_size_x
      - .offset:         94
        .size:           2
        .value_kind:     hidden_group_size_y
      - .offset:         96
        .size:           2
        .value_kind:     hidden_group_size_z
      - .offset:         98
        .size:           2
        .value_kind:     hidden_remainder_x
      - .offset:         100
        .size:           2
        .value_kind:     hidden_remainder_y
      - .offset:         102
        .size:           2
        .value_kind:     hidden_remainder_z
      - .offset:         120
        .size:           8
        .value_kind:     hidden_global_offset_x
      - .offset:         128
        .size:           8
        .value_kind:     hidden_global_offset_y
      - .offset:         136
        .size:           8
        .value_kind:     hidden_global_offset_z
      - .offset:         144
        .size:           2
        .value_kind:     hidden_grid_dims
    .group_segment_fixed_size: 17408
    .kernarg_segment_align: 8
    .kernarg_segment_size: 336
    .language:       OpenCL C
    .language_version:
      - 2
      - 0
    .max_flat_workgroup_size: 1024
    .name:           _Z27moe_mlp1_swiglu_mfma_kernelPKiiiPKfPfPK14__hip_bfloat16S6_iixxff
    .private_segment_fixed_size: 0
    .sgpr_count:     58
    .sgpr_spill_count: 0
    .symbol:         _Z27moe_mlp1_swiglu_mfma_kernelPKiiiPKfPfPK14__hip_bfloat16S6_iixxff.kd
    .uniform_work_group_size: 1
    .uses_dynamic_stack: false
    .vgpr_count:     68
    .vgpr_spill_count: 0
    .wavefront_size: 64
  - .agpr_count:     0
    .args:
      - .actual_access:  read_only
        .address_space:  global
        .offset:         0
        .size:           8
        .value_kind:     global_buffer
      - .offset:         8
        .size:           4
        .value_kind:     by_value
      - .offset:         12
        .size:           4
        .value_kind:     by_value
      - .actual_access:  read_only
        .address_space:  global
        .offset:         16
        .size:           8
        .value_kind:     global_buffer
      - .actual_access:  read_only
        .address_space:  global
        .offset:         24
        .size:           8
        .value_kind:     global_buffer
      - .actual_access:  read_only
        .address_space:  global
        .offset:         32
        .size:           8
        .value_kind:     global_buffer
      - .address_space:  global
        .offset:         40
        .size:           8
        .value_kind:     global_buffer
      - .actual_access:  read_only
        .address_space:  global
        .offset:         48
        .size:           8
        .value_kind:     global_buffer
      - .actual_access:  read_only
        .address_space:  global
        .offset:         56
        .size:           8
        .value_kind:     global_buffer
      - .offset:         64
        .size:           4
        .value_kind:     by_value
      - .offset:         68
        .size:           4
        .value_kind:     by_value
      - .offset:         72
        .size:           8
        .value_kind:     by_value
      - .offset:         80
        .size:           8
        .value_kind:     by_value
      - .offset:         88
        .size:           4
        .value_kind:     hidden_block_count_x
      - .offset:         92
        .size:           4
        .value_kind:     hidden_block_count_y
      - .offset:         96
        .size:           4
        .value_kind:     hidden_block_count_z
      - .offset:         100
        .size:           2
        .value_kind:     hidden_group_size_x
      - .offset:         102
        .size:           2
        .value_kind:     hidden_group_size_y
      - .offset:         104
        .size:           2
        .value_kind:     hidden_group_size_z
      - .offset:         106
        .size:           2
        .value_kind:     hidden_remainder_x
      - .offset:         108
        .size:           2
        .value_kind:     hidden_remainder_y
      - .offset:         110
        .size:           2
        .value_kind:     hidden_remainder_z
      - .offset:         128
        .size:           8
        .value_kind:     hidden_global_offset_x
      - .offset:         136
        .size:           8
        .value_kind:     hidden_global_offset_y
      - .offset:         144
        .size:           8
        .value_kind:     hidden_global_offset_z
      - .offset:         152
        .size:           2
        .value_kind:     hidden_grid_dims
    .group_segment_fixed_size: 17408
    .kernarg_segment_align: 8
    .kernarg_segment_size: 344
    .language:       OpenCL C
    .language_version:
      - 2
      - 0
    .max_flat_workgroup_size: 1024
    .name:           _Z28moe_mlp2_scatter_mfma_kernelPKiiiPKfS0_S2_PfPK14__hip_bfloat16S6_iixx
    .private_segment_fixed_size: 0
    .sgpr_count:     58
    .sgpr_spill_count: 0
    .symbol:         _Z28moe_mlp2_scatter_mfma_kernelPKiiiPKfS0_S2_PfPK14__hip_bfloat16S6_iixx.kd
    .uniform_work_group_size: 1
    .uses_dynamic_stack: false
    .vgpr_count:     64
    .vgpr_spill_count: 0
    .wavefront_size: 64
  - .agpr_count:     0
    .args:
      - .actual_access:  read_only
        .address_space:  global
        .offset:         0
        .size:           8
        .value_kind:     global_buffer
      - .offset:         8
        .size:           4
        .value_kind:     by_value
      - .offset:         12
        .size:           4
        .value_kind:     by_value
      - .actual_access:  read_only
        .address_space:  global
        .offset:         16
        .size:           8
        .value_kind:     global_buffer
      - .actual_access:  read_only
        .address_space:  global
        .offset:         24
        .size:           8
        .value_kind:     global_buffer
      - .actual_access:  write_only
        .address_space:  global
        .offset:         32
        .size:           8
        .value_kind:     global_buffer
      - .actual_access:  read_only
        .address_space:  global
        .offset:         40
        .size:           8
        .value_kind:     global_buffer
      - .actual_access:  read_only
        .address_space:  global
        .offset:         48
        .size:           8
        .value_kind:     global_buffer
      - .offset:         56
        .size:           4
        .value_kind:     by_value
      - .offset:         60
        .size:           4
        .value_kind:     by_value
      - .offset:         64
        .size:           8
        .value_kind:     by_value
      - .offset:         72
        .size:           8
        .value_kind:     by_value
      - .offset:         80
        .size:           4
        .value_kind:     hidden_block_count_x
      - .offset:         84
        .size:           4
        .value_kind:     hidden_block_count_y
      - .offset:         88
        .size:           4
        .value_kind:     hidden_block_count_z
      - .offset:         92
        .size:           2
        .value_kind:     hidden_group_size_x
      - .offset:         94
        .size:           2
        .value_kind:     hidden_group_size_y
      - .offset:         96
        .size:           2
        .value_kind:     hidden_group_size_z
      - .offset:         98
        .size:           2
        .value_kind:     hidden_remainder_x
      - .offset:         100
        .size:           2
        .value_kind:     hidden_remainder_y
      - .offset:         102
        .size:           2
        .value_kind:     hidden_remainder_z
      - .offset:         120
        .size:           8
        .value_kind:     hidden_global_offset_x
      - .offset:         128
        .size:           8
        .value_kind:     hidden_global_offset_y
      - .offset:         136
        .size:           8
        .value_kind:     hidden_global_offset_z
      - .offset:         144
        .size:           2
        .value_kind:     hidden_grid_dims
    .group_segment_fixed_size: 17408
    .kernarg_segment_align: 8
    .kernarg_segment_size: 336
    .language:       OpenCL C
    .language_version:
      - 2
      - 0
    .max_flat_workgroup_size: 1024
    .name:           _Z26moe_mlp2_store_mfma_kernelPKiiiPKfS2_PfPK14__hip_bfloat16S6_iixx
    .private_segment_fixed_size: 0
    .sgpr_count:     56
    .sgpr_spill_count: 0
    .symbol:         _Z26moe_mlp2_store_mfma_kernelPKiiiPKfS2_PfPK14__hip_bfloat16S6_iixx.kd
    .uniform_work_group_size: 1
    .uses_dynamic_stack: false
    .vgpr_count:     56
    .vgpr_spill_count: 0
    .wavefront_size: 64
  - .agpr_count:     0
    .args:
      - .actual_access:  read_only
        .address_space:  global
        .offset:         0
        .size:           8
        .value_kind:     global_buffer
      - .actual_access:  read_only
        .address_space:  global
        .offset:         8
        .size:           8
        .value_kind:     global_buffer
      - .offset:         16
        .size:           4
        .value_kind:     by_value
      - .offset:         20
        .size:           4
        .value_kind:     by_value
      - .offset:         24
        .size:           4
        .value_kind:     by_value
      - .address_space:  global
        .offset:         32
        .size:           8
        .value_kind:     global_buffer
      - .offset:         40
        .size:           4
        .value_kind:     hidden_block_count_x
      - .offset:         44
        .size:           4
        .value_kind:     hidden_block_count_y
      - .offset:         48
        .size:           4
        .value_kind:     hidden_block_count_z
      - .offset:         52
        .size:           2
        .value_kind:     hidden_group_size_x
      - .offset:         54
        .size:           2
        .value_kind:     hidden_group_size_y
      - .offset:         56
        .size:           2
        .value_kind:     hidden_group_size_z
      - .offset:         58
        .size:           2
        .value_kind:     hidden_remainder_x
      - .offset:         60
        .size:           2
        .value_kind:     hidden_remainder_y
      - .offset:         62
        .size:           2
        .value_kind:     hidden_remainder_z
      - .offset:         80
        .size:           8
        .value_kind:     hidden_global_offset_x
      - .offset:         88
        .size:           8
        .value_kind:     hidden_global_offset_y
      - .offset:         96
        .size:           8
        .value_kind:     hidden_global_offset_z
      - .offset:         104
        .size:           2
        .value_kind:     hidden_grid_dims
    .group_segment_fixed_size: 0
    .kernarg_segment_align: 8
    .kernarg_segment_size: 296
    .language:       OpenCL C
    .language_version:
      - 2
      - 0
    .max_flat_workgroup_size: 1024
    .name:           _Z36accumulate_remote_assignments_kernelPKfPKiiiiPf
    .private_segment_fixed_size: 0
    .sgpr_count:     20
    .sgpr_spill_count: 0
    .symbol:         _Z36accumulate_remote_assignments_kernelPKfPKiiiiPf.kd
    .uniform_work_group_size: 1
    .uses_dynamic_stack: false
    .vgpr_count:     4
    .vgpr_spill_count: 0
    .wavefront_size: 64
amdhsa.target:   amdgcn-amd-amdhsa--gfx950
amdhsa.version:
  - 1
  - 2
...

	.end_amdgpu_metadata
